;; amdgpu-corpus repo=ROCm/rocFFT kind=compiled arch=gfx1030 opt=O3
	.text
	.amdgcn_target "amdgcn-amd-amdhsa--gfx1030"
	.amdhsa_code_object_version 6
	.protected	fft_rtc_fwd_len1248_factors_2_2_13_2_3_2_2_wgs_52_tpt_52_halfLds_half_ip_CI_unitstride_sbrr_dirReg ; -- Begin function fft_rtc_fwd_len1248_factors_2_2_13_2_3_2_2_wgs_52_tpt_52_halfLds_half_ip_CI_unitstride_sbrr_dirReg
	.globl	fft_rtc_fwd_len1248_factors_2_2_13_2_3_2_2_wgs_52_tpt_52_halfLds_half_ip_CI_unitstride_sbrr_dirReg
	.p2align	8
	.type	fft_rtc_fwd_len1248_factors_2_2_13_2_3_2_2_wgs_52_tpt_52_halfLds_half_ip_CI_unitstride_sbrr_dirReg,@function
fft_rtc_fwd_len1248_factors_2_2_13_2_3_2_2_wgs_52_tpt_52_halfLds_half_ip_CI_unitstride_sbrr_dirReg: ; @fft_rtc_fwd_len1248_factors_2_2_13_2_3_2_2_wgs_52_tpt_52_halfLds_half_ip_CI_unitstride_sbrr_dirReg
; %bb.0:
	s_clause 0x2
	s_load_dwordx4 s[8:11], s[4:5], 0x0
	s_load_dwordx2 s[2:3], s[4:5], 0x50
	s_load_dwordx2 s[12:13], s[4:5], 0x18
	v_mul_u32_u24_e32 v1, 0x4ed, v0
	v_mov_b32_e32 v3, 0
	v_add_nc_u32_sdwa v5, s6, v1 dst_sel:DWORD dst_unused:UNUSED_PAD src0_sel:DWORD src1_sel:WORD_1
	v_mov_b32_e32 v1, 0
	v_mov_b32_e32 v6, v3
	v_mov_b32_e32 v2, 0
	s_waitcnt lgkmcnt(0)
	v_cmp_lt_u64_e64 s0, s[10:11], 2
	s_and_b32 vcc_lo, exec_lo, s0
	s_cbranch_vccnz .LBB0_8
; %bb.1:
	s_load_dwordx2 s[0:1], s[4:5], 0x10
	v_mov_b32_e32 v1, 0
	s_add_u32 s6, s12, 8
	v_mov_b32_e32 v2, 0
	s_addc_u32 s7, s13, 0
	s_mov_b64 s[16:17], 1
	s_waitcnt lgkmcnt(0)
	s_add_u32 s14, s0, 8
	s_addc_u32 s15, s1, 0
.LBB0_2:                                ; =>This Inner Loop Header: Depth=1
	s_load_dwordx2 s[18:19], s[14:15], 0x0
                                        ; implicit-def: $vgpr7_vgpr8
	s_mov_b32 s0, exec_lo
	s_waitcnt lgkmcnt(0)
	v_or_b32_e32 v4, s19, v6
	v_cmpx_ne_u64_e32 0, v[3:4]
	s_xor_b32 s1, exec_lo, s0
	s_cbranch_execz .LBB0_4
; %bb.3:                                ;   in Loop: Header=BB0_2 Depth=1
	v_cvt_f32_u32_e32 v4, s18
	v_cvt_f32_u32_e32 v7, s19
	s_sub_u32 s0, 0, s18
	s_subb_u32 s20, 0, s19
	v_fmac_f32_e32 v4, 0x4f800000, v7
	v_rcp_f32_e32 v4, v4
	v_mul_f32_e32 v4, 0x5f7ffffc, v4
	v_mul_f32_e32 v7, 0x2f800000, v4
	v_trunc_f32_e32 v7, v7
	v_fmac_f32_e32 v4, 0xcf800000, v7
	v_cvt_u32_f32_e32 v7, v7
	v_cvt_u32_f32_e32 v4, v4
	v_mul_lo_u32 v8, s0, v7
	v_mul_hi_u32 v9, s0, v4
	v_mul_lo_u32 v10, s20, v4
	v_add_nc_u32_e32 v8, v9, v8
	v_mul_lo_u32 v9, s0, v4
	v_add_nc_u32_e32 v8, v8, v10
	v_mul_hi_u32 v10, v4, v9
	v_mul_lo_u32 v11, v4, v8
	v_mul_hi_u32 v12, v4, v8
	v_mul_hi_u32 v13, v7, v9
	v_mul_lo_u32 v9, v7, v9
	v_mul_hi_u32 v14, v7, v8
	v_mul_lo_u32 v8, v7, v8
	v_add_co_u32 v10, vcc_lo, v10, v11
	v_add_co_ci_u32_e32 v11, vcc_lo, 0, v12, vcc_lo
	v_add_co_u32 v9, vcc_lo, v10, v9
	v_add_co_ci_u32_e32 v9, vcc_lo, v11, v13, vcc_lo
	v_add_co_ci_u32_e32 v10, vcc_lo, 0, v14, vcc_lo
	v_add_co_u32 v8, vcc_lo, v9, v8
	v_add_co_ci_u32_e32 v9, vcc_lo, 0, v10, vcc_lo
	v_add_co_u32 v4, vcc_lo, v4, v8
	v_add_co_ci_u32_e32 v7, vcc_lo, v7, v9, vcc_lo
	v_mul_hi_u32 v8, s0, v4
	v_mul_lo_u32 v10, s20, v4
	v_mul_lo_u32 v9, s0, v7
	v_add_nc_u32_e32 v8, v8, v9
	v_mul_lo_u32 v9, s0, v4
	v_add_nc_u32_e32 v8, v8, v10
	v_mul_hi_u32 v10, v4, v9
	v_mul_lo_u32 v11, v4, v8
	v_mul_hi_u32 v12, v4, v8
	v_mul_hi_u32 v13, v7, v9
	v_mul_lo_u32 v9, v7, v9
	v_mul_hi_u32 v14, v7, v8
	v_mul_lo_u32 v8, v7, v8
	v_add_co_u32 v10, vcc_lo, v10, v11
	v_add_co_ci_u32_e32 v11, vcc_lo, 0, v12, vcc_lo
	v_add_co_u32 v9, vcc_lo, v10, v9
	v_add_co_ci_u32_e32 v9, vcc_lo, v11, v13, vcc_lo
	v_add_co_ci_u32_e32 v10, vcc_lo, 0, v14, vcc_lo
	v_add_co_u32 v8, vcc_lo, v9, v8
	v_add_co_ci_u32_e32 v9, vcc_lo, 0, v10, vcc_lo
	v_add_co_u32 v4, vcc_lo, v4, v8
	v_add_co_ci_u32_e32 v11, vcc_lo, v7, v9, vcc_lo
	v_mul_hi_u32 v13, v5, v4
	v_mad_u64_u32 v[9:10], null, v6, v4, 0
	v_mad_u64_u32 v[7:8], null, v5, v11, 0
	;; [unrolled: 1-line block ×3, first 2 shown]
	v_add_co_u32 v4, vcc_lo, v13, v7
	v_add_co_ci_u32_e32 v7, vcc_lo, 0, v8, vcc_lo
	v_add_co_u32 v4, vcc_lo, v4, v9
	v_add_co_ci_u32_e32 v4, vcc_lo, v7, v10, vcc_lo
	v_add_co_ci_u32_e32 v7, vcc_lo, 0, v12, vcc_lo
	v_add_co_u32 v4, vcc_lo, v4, v11
	v_add_co_ci_u32_e32 v9, vcc_lo, 0, v7, vcc_lo
	v_mul_lo_u32 v10, s19, v4
	v_mad_u64_u32 v[7:8], null, s18, v4, 0
	v_mul_lo_u32 v11, s18, v9
	v_sub_co_u32 v7, vcc_lo, v5, v7
	v_add3_u32 v8, v8, v11, v10
	v_sub_nc_u32_e32 v10, v6, v8
	v_subrev_co_ci_u32_e64 v10, s0, s19, v10, vcc_lo
	v_add_co_u32 v11, s0, v4, 2
	v_add_co_ci_u32_e64 v12, s0, 0, v9, s0
	v_sub_co_u32 v13, s0, v7, s18
	v_sub_co_ci_u32_e32 v8, vcc_lo, v6, v8, vcc_lo
	v_subrev_co_ci_u32_e64 v10, s0, 0, v10, s0
	v_cmp_le_u32_e32 vcc_lo, s18, v13
	v_cmp_eq_u32_e64 s0, s19, v8
	v_cndmask_b32_e64 v13, 0, -1, vcc_lo
	v_cmp_le_u32_e32 vcc_lo, s19, v10
	v_cndmask_b32_e64 v14, 0, -1, vcc_lo
	v_cmp_le_u32_e32 vcc_lo, s18, v7
	;; [unrolled: 2-line block ×3, first 2 shown]
	v_cndmask_b32_e64 v15, 0, -1, vcc_lo
	v_cmp_eq_u32_e32 vcc_lo, s19, v10
	v_cndmask_b32_e64 v7, v15, v7, s0
	v_cndmask_b32_e32 v10, v14, v13, vcc_lo
	v_add_co_u32 v13, vcc_lo, v4, 1
	v_add_co_ci_u32_e32 v14, vcc_lo, 0, v9, vcc_lo
	v_cmp_ne_u32_e32 vcc_lo, 0, v10
	v_cndmask_b32_e32 v8, v14, v12, vcc_lo
	v_cndmask_b32_e32 v10, v13, v11, vcc_lo
	v_cmp_ne_u32_e32 vcc_lo, 0, v7
	v_cndmask_b32_e32 v8, v9, v8, vcc_lo
	v_cndmask_b32_e32 v7, v4, v10, vcc_lo
.LBB0_4:                                ;   in Loop: Header=BB0_2 Depth=1
	s_andn2_saveexec_b32 s0, s1
	s_cbranch_execz .LBB0_6
; %bb.5:                                ;   in Loop: Header=BB0_2 Depth=1
	v_cvt_f32_u32_e32 v4, s18
	s_sub_i32 s1, 0, s18
	v_rcp_iflag_f32_e32 v4, v4
	v_mul_f32_e32 v4, 0x4f7ffffe, v4
	v_cvt_u32_f32_e32 v4, v4
	v_mul_lo_u32 v7, s1, v4
	v_mul_hi_u32 v7, v4, v7
	v_add_nc_u32_e32 v4, v4, v7
	v_mul_hi_u32 v4, v5, v4
	v_mul_lo_u32 v7, v4, s18
	v_add_nc_u32_e32 v8, 1, v4
	v_sub_nc_u32_e32 v7, v5, v7
	v_subrev_nc_u32_e32 v9, s18, v7
	v_cmp_le_u32_e32 vcc_lo, s18, v7
	v_cndmask_b32_e32 v7, v7, v9, vcc_lo
	v_cndmask_b32_e32 v4, v4, v8, vcc_lo
	v_cmp_le_u32_e32 vcc_lo, s18, v7
	v_add_nc_u32_e32 v8, 1, v4
	v_cndmask_b32_e32 v7, v4, v8, vcc_lo
	v_mov_b32_e32 v8, v3
.LBB0_6:                                ;   in Loop: Header=BB0_2 Depth=1
	s_or_b32 exec_lo, exec_lo, s0
	s_load_dwordx2 s[0:1], s[6:7], 0x0
	v_mul_lo_u32 v4, v8, s18
	v_mul_lo_u32 v11, v7, s19
	v_mad_u64_u32 v[9:10], null, v7, s18, 0
	s_add_u32 s16, s16, 1
	s_addc_u32 s17, s17, 0
	s_add_u32 s6, s6, 8
	s_addc_u32 s7, s7, 0
	;; [unrolled: 2-line block ×3, first 2 shown]
	v_add3_u32 v4, v10, v11, v4
	v_sub_co_u32 v5, vcc_lo, v5, v9
	v_sub_co_ci_u32_e32 v4, vcc_lo, v6, v4, vcc_lo
	s_waitcnt lgkmcnt(0)
	v_mul_lo_u32 v6, s1, v5
	v_mul_lo_u32 v4, s0, v4
	v_mad_u64_u32 v[1:2], null, s0, v5, v[1:2]
	v_cmp_ge_u64_e64 s0, s[16:17], s[10:11]
	s_and_b32 vcc_lo, exec_lo, s0
	v_add3_u32 v2, v6, v2, v4
	s_cbranch_vccnz .LBB0_9
; %bb.7:                                ;   in Loop: Header=BB0_2 Depth=1
	v_mov_b32_e32 v5, v7
	v_mov_b32_e32 v6, v8
	s_branch .LBB0_2
.LBB0_8:
	v_mov_b32_e32 v8, v6
	v_mov_b32_e32 v7, v5
.LBB0_9:
	s_lshl_b64 s[0:1], s[10:11], 3
	v_mul_hi_u32 v6, 0x4ec4ec5, v0
	s_add_u32 s0, s12, s0
	s_addc_u32 s1, s13, s1
	v_mov_b32_e32 v5, 0
	s_load_dwordx2 s[0:1], s[0:1], 0x0
	s_load_dwordx2 s[4:5], s[4:5], 0x20
	v_mov_b32_e32 v4, 0
	v_mov_b32_e32 v3, 0
	;; [unrolled: 1-line block ×3, first 2 shown]
	v_mul_u32_u24_e32 v6, 52, v6
	v_mov_b32_e32 v36, 0
	v_mov_b32_e32 v35, 0
	;; [unrolled: 1-line block ×4, first 2 shown]
	v_sub_nc_u32_e32 v12, v0, v6
	v_mov_b32_e32 v13, 0
	v_mov_b32_e32 v20, 0
	;; [unrolled: 1-line block ×4, first 2 shown]
	v_or_b32_e32 v14, 0x340, v12
                                        ; implicit-def: $vgpr22
                                        ; implicit-def: $vgpr6
                                        ; implicit-def: $vgpr47
                                        ; implicit-def: $vgpr46
                                        ; implicit-def: $vgpr0
                                        ; implicit-def: $vgpr43
                                        ; implicit-def: $vgpr21
                                        ; implicit-def: $vgpr44
                                        ; implicit-def: $vgpr18
                                        ; implicit-def: $vgpr45
                                        ; implicit-def: $vgpr15
                                        ; implicit-def: $vgpr41
                                        ; implicit-def: $vgpr19
                                        ; implicit-def: $vgpr38
                                        ; implicit-def: $vgpr39
                                        ; implicit-def: $vgpr40
                                        ; implicit-def: $vgpr42
                                        ; implicit-def: $vgpr11
	s_waitcnt lgkmcnt(0)
	v_mul_lo_u32 v9, s0, v8
	v_mul_lo_u32 v10, s1, v7
	v_mad_u64_u32 v[1:2], null, s0, v7, v[1:2]
	v_cmp_gt_u64_e32 vcc_lo, s[4:5], v[7:8]
                                        ; implicit-def: $vgpr7
                                        ; implicit-def: $vgpr8
	v_add3_u32 v2, v10, v2, v9
                                        ; implicit-def: $vgpr9
                                        ; implicit-def: $vgpr10
	v_lshlrev_b64 v[16:17], 2, v[1:2]
                                        ; implicit-def: $vgpr2
                                        ; implicit-def: $vgpr1
	s_and_saveexec_b32 s1, vcc_lo
	s_cbranch_execz .LBB0_11
; %bb.10:
	v_mov_b32_e32 v13, 0
	v_add_co_u32 v8, s0, s2, v16
	v_add_co_ci_u32_e64 v9, s0, s3, v17, s0
	v_lshlrev_b64 v[0:1], 2, v[12:13]
	v_mov_b32_e32 v15, v13
	v_lshlrev_b64 v[2:3], 2, v[14:15]
	v_add_co_u32 v22, s0, v8, v0
	v_add_co_ci_u32_e64 v23, s0, v9, v1, s0
	v_add_co_u32 v24, s0, 0x800, v22
	v_add_co_ci_u32_e64 v25, s0, 0, v23, s0
	v_add_co_u32 v4, s0, 0x1000, v22
	s_clause 0x3
	global_load_dword v7, v[24:25], off offset:448
	global_load_dword v6, v[24:25], off offset:656
	global_load_dword v1, v[24:25], off offset:864
	global_load_dword v0, v[24:25], off offset:1072
	v_add_co_ci_u32_e64 v5, s0, 0, v23, s0
	v_add_co_u32 v2, s0, v8, v2
	v_add_co_ci_u32_e64 v3, s0, v9, v3, s0
	s_clause 0x13
	global_load_dword v18, v[24:25], off offset:1488
	global_load_dword v15, v[24:25], off offset:1696
	;; [unrolled: 1-line block ×6, first 2 shown]
	global_load_dword v21, v[2:3], off
	global_load_dword v19, v[24:25], off offset:1904
	global_load_dword v5, v[22:23], off
	global_load_dword v4, v[22:23], off offset:208
	global_load_dword v3, v[22:23], off offset:416
	global_load_dword v37, v[22:23], off offset:624
	global_load_dword v36, v[22:23], off offset:832
	global_load_dword v35, v[22:23], off offset:1040
	global_load_dword v34, v[22:23], off offset:1248
	global_load_dword v31, v[22:23], off offset:1456
	global_load_dword v13, v[22:23], off offset:1664
	global_load_dword v20, v[22:23], off offset:1872
	global_load_dword v30, v[24:25], off offset:32
	global_load_dword v32, v[24:25], off offset:240
	s_waitcnt vmcnt(19)
	v_lshrrev_b32_e32 v44, 16, v18
	s_waitcnt vmcnt(18)
	v_lshrrev_b32_e32 v45, 16, v15
	;; [unrolled: 2-line block ×8, first 2 shown]
	v_lshrrev_b32_e32 v22, 16, v7
	v_lshrrev_b32_e32 v2, 16, v6
	;; [unrolled: 1-line block ×4, first 2 shown]
.LBB0_11:
	s_or_b32 exec_lo, exec_lo, s1
	s_waitcnt vmcnt(11)
	v_lshrrev_b32_e32 v23, 16, v5
	v_sub_f16_e32 v7, v5, v7
	s_waitcnt vmcnt(10)
	v_sub_f16_e32 v6, v4, v6
	s_waitcnt vmcnt(9)
	v_sub_f16_e32 v1, v3, v1
	s_waitcnt vmcnt(8)
	v_sub_f16_e32 v0, v37, v0
	v_sub_f16_e32 v48, v23, v22
	s_waitcnt vmcnt(7)
	v_sub_f16_e32 v22, v36, v21
	v_fma_f16 v5, v5, 2.0, -v7
	v_fma_f16 v25, v4, 2.0, -v6
	v_add_nc_u32_e32 v33, 52, v12
	v_fma_f16 v49, v23, 2.0, -v48
	v_fma_f16 v23, v3, 2.0, -v1
	v_add_nc_u32_e32 v29, 0x68, v12
	v_fma_f16 v26, v37, 2.0, -v0
	v_add_nc_u32_e32 v21, 0x9c, v12
	s_waitcnt vmcnt(6)
	v_sub_f16_e32 v24, v35, v18
	s_waitcnt vmcnt(4)
	v_sub_f16_e32 v19, v31, v19
	v_lshrrev_b32_e32 v37, 16, v37
	v_sub_f16_e32 v15, v34, v15
	v_lshrrev_b32_e32 v4, 16, v4
	v_fma_f16 v27, v36, 2.0, -v22
	v_lshl_add_u32 v57, v12, 2, 0
	v_pack_b32_f16 v5, v5, v7
	v_lshl_add_u32 v58, v33, 2, 0
	v_pack_b32_f16 v6, v25, v6
	;; [unrolled: 2-line block ×4, first 2 shown]
	v_fma_f16 v50, v35, 2.0, -v24
	s_waitcnt vmcnt(3)
	v_sub_f16_e32 v8, v13, v8
	s_waitcnt vmcnt(1)
	v_sub_f16_e32 v10, v30, v10
	;; [unrolled: 2-line block ×3, first 2 shown]
	v_fma_f16 v52, v31, 2.0, -v19
	v_add_nc_u32_e32 v28, 0xd0, v12
	v_add_nc_u32_e32 v25, 0x104, v12
	v_sub_f16_e32 v46, v37, v46
	v_fma_f16 v51, v34, 2.0, -v15
	v_sub_f16_e32 v9, v20, v9
	v_add_nc_u32_e32 v26, 0x138, v12
	v_pack_b32_f16 v48, v49, v48
	v_sub_f16_e32 v49, v4, v2
	ds_write_b32 v57, v5
	ds_write_b32 v58, v6
	;; [unrolled: 1-line block ×4, first 2 shown]
	v_pack_b32_f16 v0, v27, v22
	v_add_nc_u32_e32 v27, 0x16c, v12
	v_fma_f16 v53, v13, 2.0, -v8
	v_fma_f16 v55, v30, 2.0, -v10
	v_fma_f16 v56, v32, 2.0, -v11
	v_lshlrev_b32_e32 v18, 1, v12
	v_lshl_add_u32 v61, v28, 2, 0
	v_lshl_add_u32 v62, v25, 2, 0
	v_pack_b32_f16 v1, v50, v24
	v_pack_b32_f16 v6, v52, v19
	v_add_nc_u32_e32 v19, 0x1a0, v12
	v_add_nc_u32_e32 v23, 0x23c, v12
	v_fma_f16 v37, v37, 2.0, -v46
	v_fma_f16 v54, v20, 2.0, -v9
	v_lshl_add_u32 v50, v26, 2, 0
	v_pack_b32_f16 v5, v51, v15
	v_add_nc_u32_e32 v15, 0x1d4, v12
	v_fma_f16 v72, v4, 2.0, -v49
	v_lshl_add_u32 v51, v27, 2, 0
	v_add_nc_u32_e32 v22, 0x208, v12
	v_lshrrev_b32_e32 v73, 16, v3
	v_lshrrev_b32_e32 v36, 16, v36
	;; [unrolled: 1-line block ×4, first 2 shown]
	ds_write_b32 v61, v0
	ds_write_b32 v62, v1
	;; [unrolled: 1-line block ×4, first 2 shown]
	v_lshl_add_u32 v52, v19, 2, 0
	v_pack_b32_f16 v0, v53, v8
	v_pack_b32_f16 v5, v55, v10
	v_lshl_add_u32 v55, v23, 2, 0
	v_pack_b32_f16 v6, v56, v11
	v_add_nc_u32_e32 v24, 0, v18
	v_pack_b32_f16 v37, v37, v46
	v_lshrrev_b32_e32 v31, 16, v31
	v_lshl_add_u32 v53, v15, 2, 0
	v_pack_b32_f16 v1, v54, v9
	v_pack_b32_f16 v49, v72, v49
	v_lshl_add_u32 v54, v22, 2, 0
	v_sub_f16_e32 v47, v73, v47
	v_sub_f16_e32 v43, v36, v43
	v_lshrrev_b32_e32 v13, 16, v13
	v_sub_f16_e32 v44, v35, v44
	v_lshrrev_b32_e32 v20, 16, v20
	;; [unrolled: 2-line block ×3, first 2 shown]
	ds_write_b32 v52, v0
	ds_write_b32 v53, v1
	ds_write_b32 v54, v5
	ds_write_b32 v55, v6
	s_waitcnt lgkmcnt(0)
	s_barrier
	buffer_gl0_inv
	ds_read_u16 v1, v24 offset:1456
	ds_read_u16 v0, v24 offset:1560
	ds_read_u16 v56, v24
	ds_read_u16 v63, v24 offset:104
	ds_read_u16 v64, v24 offset:208
	;; [unrolled: 1-line block ×21, first 2 shown]
	s_waitcnt lgkmcnt(0)
	s_barrier
	buffer_gl0_inv
	ds_write_b32 v57, v48
	ds_write_b32 v58, v49
	;; [unrolled: 1-line block ×3, first 2 shown]
	v_sub_f16_e32 v37, v31, v41
	v_fma_f16 v48, v73, 2.0, -v47
	v_fma_f16 v36, v36, 2.0, -v43
	v_lshrrev_b32_e32 v32, 16, v32
	v_sub_f16_e32 v38, v13, v38
	v_fma_f16 v35, v35, 2.0, -v44
	v_sub_f16_e32 v39, v20, v39
	v_fma_f16 v34, v34, 2.0, -v45
	;; [unrolled: 2-line block ×3, first 2 shown]
	v_pack_b32_f16 v47, v48, v47
	v_pack_b32_f16 v36, v36, v43
	v_sub_f16_e32 v41, v32, v42
	v_fma_f16 v13, v13, 2.0, -v38
	v_pack_b32_f16 v35, v35, v44
	v_fma_f16 v20, v20, 2.0, -v39
	v_pack_b32_f16 v34, v34, v45
	;; [unrolled: 2-line block ×3, first 2 shown]
	ds_write_b32 v59, v47
	v_fma_f16 v32, v32, 2.0, -v41
	ds_write_b32 v61, v36
	ds_write_b32 v62, v35
	;; [unrolled: 1-line block ×4, first 2 shown]
	v_pack_b32_f16 v13, v13, v38
	v_and_b32_e32 v31, 1, v12
	v_pack_b32_f16 v20, v20, v39
	v_pack_b32_f16 v30, v30, v40
	;; [unrolled: 1-line block ×3, first 2 shown]
	ds_write_b32 v52, v13
	ds_write_b32 v53, v20
	;; [unrolled: 1-line block ×3, first 2 shown]
	v_lshlrev_b32_e32 v13, 2, v31
	v_and_or_b32 v30, 0x7c, v18, v31
	ds_write_b32 v55, v32
	s_waitcnt lgkmcnt(0)
	s_barrier
	buffer_gl0_inv
	global_load_dword v13, v13, s[8:9]
	v_lshlrev_b32_e32 v34, 1, v29
	v_lshlrev_b32_e32 v38, 1, v26
	;; [unrolled: 1-line block ×4, first 2 shown]
	v_lshl_add_u32 v32, v30, 1, 0
	v_and_or_b32 v30, 0x1fc, v34, v31
	v_and_or_b32 v47, 0x2fc, v38, v31
	;; [unrolled: 1-line block ×3, first 2 shown]
	v_lshlrev_b32_e32 v36, 1, v28
	v_lshlrev_b32_e32 v37, 1, v25
	;; [unrolled: 1-line block ×7, first 2 shown]
	v_and_or_b32 v44, 0x1fc, v35, v31
	v_lshl_add_u32 v35, v30, 1, 0
	v_lshl_add_u32 v39, v47, 1, 0
	;; [unrolled: 1-line block ×3, first 2 shown]
	ds_read_u16 v90, v24 offset:1352
	ds_read_u16 v91, v24 offset:1456
	;; [unrolled: 1-line block ×16, first 2 shown]
	ds_read_u16 v30, v24
	ds_read_u16 v80, v24 offset:104
	ds_read_u16 v75, v24 offset:208
	;; [unrolled: 1-line block ×7, first 2 shown]
	v_and_or_b32 v45, 0x3fc, v36, v31
	v_and_or_b32 v46, 0x2fc, v37, v31
	;; [unrolled: 1-line block ×7, first 2 shown]
	v_lshl_add_u32 v36, v44, 1, 0
	v_lshl_add_u32 v37, v45, 1, 0
	;; [unrolled: 1-line block ×8, first 2 shown]
	s_waitcnt vmcnt(0) lgkmcnt(0)
	s_barrier
	buffer_gl0_inv
	v_cmp_gt_u32_e64 s0, 44, v12
	v_mul_f16_sdwa v31, v92, v13 dst_sel:DWORD dst_unused:UNUSED_PAD src0_sel:DWORD src1_sel:WORD_1
	v_mul_f16_sdwa v40, v90, v13 dst_sel:DWORD dst_unused:UNUSED_PAD src0_sel:DWORD src1_sel:WORD_1
	;; [unrolled: 1-line block ×12, first 2 shown]
	v_fma_f16 v31, v11, v13, -v31
	v_fma_f16 v40, v10, v13, -v40
	;; [unrolled: 1-line block ×12, first 2 shown]
	v_sub_f16_e32 v59, v56, v31
	v_sub_f16_e32 v60, v63, v40
	;; [unrolled: 1-line block ×12, first 2 shown]
	v_fma_f16 v58, v56, 2.0, -v59
	ds_write_b16 v32, v59 offset:4
	v_fma_f16 v59, v63, 2.0, -v60
	v_fma_f16 v63, v64, 2.0, -v42
	;; [unrolled: 1-line block ×11, first 2 shown]
	ds_write_b16 v32, v58
	ds_write_b16 v34, v59
	ds_write_b16 v34, v60 offset:4
	ds_write_b16 v35, v63
	ds_write_b16 v35, v42 offset:4
	ds_write_b16 v36, v64
	ds_write_b16 v36, v61 offset:4
	ds_write_b16 v37, v65
	ds_write_b16 v37, v62 offset:4
	ds_write_b16 v38, v66
	ds_write_b16 v38, v95 offset:4
	ds_write_b16 v39, v67
	ds_write_b16 v39, v31 offset:4
	ds_write_b16 v47, v53
	ds_write_b16 v47, v46 offset:4
	ds_write_b16 v45, v57
	ds_write_b16 v45, v40 offset:4
	ds_write_b16 v44, v56
	ds_write_b16 v44, v52 offset:4
	ds_write_b16 v43, v55
	ds_write_b16 v43, v51 offset:4
	ds_write_b16 v41, v54
	ds_write_b16 v41, v50 offset:4
	s_waitcnt lgkmcnt(0)
	s_barrier
	buffer_gl0_inv
	ds_read_u16 v42, v24
	ds_read_u16 v71, v24 offset:192
	ds_read_u16 v70, v24 offset:384
	;; [unrolled: 1-line block ×12, first 2 shown]
                                        ; implicit-def: $vgpr61
                                        ; implicit-def: $vgpr64
	s_and_saveexec_b32 s1, s0
	s_cbranch_execz .LBB0_13
; %bb.12:
	ds_read_u16 v31, v24 offset:104
	ds_read_u16 v53, v24 offset:296
	;; [unrolled: 1-line block ×13, first 2 shown]
.LBB0_13:
	s_or_b32 exec_lo, exec_lo, s1
	v_mul_f16_sdwa v11, v11, v13 dst_sel:DWORD dst_unused:UNUSED_PAD src0_sel:DWORD src1_sel:WORD_1
	v_mul_f16_sdwa v10, v10, v13 dst_sel:DWORD dst_unused:UNUSED_PAD src0_sel:DWORD src1_sel:WORD_1
	;; [unrolled: 1-line block ×5, first 2 shown]
	v_fmac_f16_e32 v11, v92, v13
	v_mul_f16_sdwa v8, v8, v13 dst_sel:DWORD dst_unused:UNUSED_PAD src0_sel:DWORD src1_sel:WORD_1
	v_mul_f16_sdwa v7, v7, v13 dst_sel:DWORD dst_unused:UNUSED_PAD src0_sel:DWORD src1_sel:WORD_1
	v_fmac_f16_e32 v10, v90, v13
	v_fmac_f16_e32 v1, v91, v13
	;; [unrolled: 1-line block ×3, first 2 shown]
	v_mul_f16_sdwa v6, v6, v13 dst_sel:DWORD dst_unused:UNUSED_PAD src0_sel:DWORD src1_sel:WORD_1
	v_mul_f16_sdwa v5, v5, v13 dst_sel:DWORD dst_unused:UNUSED_PAD src0_sel:DWORD src1_sel:WORD_1
	v_fmac_f16_e32 v9, v85, v13
	v_fmac_f16_e32 v8, v86, v13
	;; [unrolled: 1-line block ×3, first 2 shown]
	v_mul_f16_sdwa v4, v4, v13 dst_sel:DWORD dst_unused:UNUSED_PAD src0_sel:DWORD src1_sel:WORD_1
	v_mul_f16_sdwa v3, v3, v13 dst_sel:DWORD dst_unused:UNUSED_PAD src0_sel:DWORD src1_sel:WORD_1
	;; [unrolled: 1-line block ×3, first 2 shown]
	v_sub_f16_e32 v11, v30, v11
	v_fmac_f16_e32 v6, v88, v13
	v_fmac_f16_e32 v5, v84, v13
	v_sub_f16_e32 v10, v80, v10
	v_fmac_f16_e32 v4, v81, v13
	v_fmac_f16_e32 v3, v82, v13
	;; [unrolled: 1-line block ×3, first 2 shown]
	v_fma_f16 v13, v30, 2.0, -v11
	v_sub_f16_e32 v1, v75, v1
	v_sub_f16_e32 v0, v76, v0
	;; [unrolled: 1-line block ×5, first 2 shown]
	v_fma_f16 v86, v80, 2.0, -v10
	v_fma_f16 v7, v75, 2.0, -v1
	;; [unrolled: 1-line block ×6, first 2 shown]
	v_sub_f16_e32 v76, v74, v6
	v_sub_f16_e32 v77, v48, v5
	;; [unrolled: 1-line block ×5, first 2 shown]
	v_fma_f16 v85, v74, 2.0, -v76
	v_fma_f16 v84, v48, 2.0, -v77
	;; [unrolled: 1-line block ×5, first 2 shown]
	s_waitcnt lgkmcnt(0)
	s_barrier
	buffer_gl0_inv
	ds_write_b16 v32, v13
	ds_write_b16 v32, v11 offset:4
	ds_write_b16 v34, v86
	ds_write_b16 v34, v10 offset:4
	;; [unrolled: 2-line block ×12, first 2 shown]
	s_waitcnt lgkmcnt(0)
	s_barrier
	buffer_gl0_inv
	ds_read_u16 v32, v24
	ds_read_u16 v101, v24 offset:192
	ds_read_u16 v100, v24 offset:384
	;; [unrolled: 1-line block ×12, first 2 shown]
                                        ; implicit-def: $vgpr90
                                        ; implicit-def: $vgpr93
	s_and_saveexec_b32 s1, s0
	s_cbranch_execz .LBB0_15
; %bb.14:
	ds_read_u16 v30, v24 offset:104
	ds_read_u16 v85, v24 offset:296
	;; [unrolled: 1-line block ×13, first 2 shown]
.LBB0_15:
	s_or_b32 exec_lo, exec_lo, s1
	v_and_b32_e32 v13, 3, v12
	v_lshrrev_b32_e32 v34, 2, v12
	v_lshrrev_b32_e32 v33, 2, v33
	v_mul_u32_u24_e32 v0, 12, v13
	v_mul_u32_u24_e32 v34, 52, v34
	v_lshlrev_b32_e32 v8, 2, v0
	v_or_b32_e32 v34, v34, v13
	s_clause 0x2
	global_load_dwordx4 v[0:3], v8, s[8:9] offset:8
	global_load_dwordx4 v[4:7], v8, s[8:9] offset:24
	;; [unrolled: 1-line block ×3, first 2 shown]
	v_lshl_add_u32 v48, v34, 1, 0
	s_waitcnt vmcnt(0) lgkmcnt(0)
	s_barrier
	buffer_gl0_inv
	v_mul_f16_sdwa v108, v101, v0 dst_sel:DWORD dst_unused:UNUSED_PAD src0_sel:DWORD src1_sel:WORD_1
	v_mul_f16_sdwa v107, v71, v0 dst_sel:DWORD dst_unused:UNUSED_PAD src0_sel:DWORD src1_sel:WORD_1
	;; [unrolled: 1-line block ×44, first 2 shown]
	v_fma_f16 v71, v71, v0, -v108
	v_fmac_f16_e32 v107, v101, v0
	v_fmac_f16_e32 v106, v100, v1
	;; [unrolled: 1-line block ×12, first 2 shown]
	v_mul_f16_sdwa v37, v51, v7 dst_sel:DWORD dst_unused:UNUSED_PAD src0_sel:DWORD src1_sel:WORD_1
	v_mul_f16_sdwa v43, v50, v9 dst_sel:DWORD dst_unused:UNUSED_PAD src0_sel:DWORD src1_sel:WORD_1
	;; [unrolled: 1-line block ×4, first 2 shown]
	v_fma_f16 v70, v70, v1, -v109
	v_fma_f16 v69, v69, v2, -v110
	;; [unrolled: 1-line block ×12, first 2 shown]
	v_fmac_f16_e32 v49, v85, v0
	v_fma_f16 v53, v46, v1, -v121
	v_fmac_f16_e32 v47, v76, v1
	v_fma_f16 v46, v57, v2, -v122
	;; [unrolled: 2-line block ×7, first 2 shown]
	v_fma_f16 v4, v54, v8, -v128
	v_fmac_f16_e32 v39, v81, v8
	v_fma_f16 v5, v50, v9, -v129
	v_fma_f16 v6, v64, v10, -v130
	v_fmac_f16_e32 v45, v93, v10
	v_sub_f16_e32 v8, v107, v104
	v_sub_f16_e32 v10, v106, v105
	;; [unrolled: 1-line block ×6, first 2 shown]
	v_add_f16_e32 v64, v42, v71
	v_fmac_f16_e32 v37, v79, v7
	v_fmac_f16_e32 v43, v80, v9
	v_fma_f16 v52, v61, v11, -v131
	v_fmac_f16_e32 v44, v90, v11
	v_add_f16_e32 v7, v71, v89
	v_add_f16_e32 v9, v70, v59
	;; [unrolled: 1-line block ×6, first 2 shown]
	v_mul_f16_e32 v76, 0xb770, v8
	v_mul_f16_e32 v77, 0xba95, v8
	;; [unrolled: 1-line block ×36, first 2 shown]
	v_add_f16_e32 v64, v64, v70
	v_fma_f16 v115, v7, 0x3b15, -v76
	v_fmac_f16_e32 v76, 0x3b15, v7
	v_fma_f16 v116, v7, 0x388b, -v77
	v_fmac_f16_e32 v77, 0x388b, v7
	;; [unrolled: 2-line block ×36, first 2 shown]
	v_add_f16_e32 v61, v64, v69
	v_add_f16_e32 v64, v42, v115
	v_add_f16_e32 v76, v42, v76
	v_add_f16_e32 v115, v42, v116
	v_add_f16_e32 v77, v42, v77
	v_add_f16_e32 v116, v42, v117
	v_add_f16_e32 v78, v42, v78
	v_add_f16_e32 v117, v42, v118
	v_add_f16_e32 v79, v42, v79
	v_add_f16_e32 v118, v42, v119
	v_add_f16_e32 v80, v42, v80
	v_add_f16_e32 v119, v42, v120
	v_add_f16_e32 v8, v42, v8
	v_add_f16_e32 v42, v61, v68
	v_add_f16_e32 v7, v7, v64
	v_add_f16_e32 v64, v121, v115
	v_add_f16_e32 v61, v81, v76
	v_add_f16_e32 v8, v10, v8
	v_add_f16_e32 v10, v42, v67
	v_add_f16_e32 v76, v82, v77
	v_add_f16_e32 v77, v122, v116
	v_add_f16_e32 v7, v9, v7
	v_add_f16_e32 v78, v83, v78
	v_add_f16_e32 v10, v10, v66
	v_add_f16_e32 v81, v123, v117
	v_add_f16_e32 v79, v84, v79
	v_add_f16_e32 v80, v85, v80
	v_add_f16_e32 v42, v126, v64
	v_add_f16_e32 v10, v10, v65
	v_add_f16_e32 v82, v124, v118
	v_add_f16_e32 v64, v127, v77
	v_add_f16_e32 v83, v125, v119
	v_add_f16_e32 v7, v11, v7
	v_add_f16_e32 v10, v10, v63
	v_add_f16_e32 v9, v88, v61
	v_add_f16_e32 v61, v90, v76
	v_add_f16_e32 v76, v91, v78
	v_add_f16_e32 v77, v128, v81
	v_add_f16_e32 v78, v92, v79
	v_add_f16_e32 v80, v93, v80
	v_add_f16_e32 v11, v131, v42
	v_add_f16_e32 v79, v129, v82
	v_add_f16_e32 v8, v50, v8
	v_add_f16_e32 v50, v132, v64
	v_add_f16_e32 v81, v130, v83
	v_add_f16_e32 v7, v54, v7
	v_add_f16_e32 v10, v10, v62
	v_add_f16_e32 v42, v95, v61
	v_add_f16_e32 v61, v96, v76
	v_add_f16_e32 v64, v133, v77
	v_add_f16_e32 v76, v97, v78
	v_add_f16_e32 v78, v98, v80
	v_add_f16_e32 v11, v136, v11
	v_add_f16_e32 v77, v134, v79
	v_add_f16_e32 v50, v137, v50
	v_add_f16_e32 v79, v135, v81
	v_add_f16_e32 v8, v51, v8
	v_add_f16_e32 v7, v56, v7
	v_add_f16_e32 v10, v10, v60
	v_add_f16_e32 v9, v94, v9
	v_add_f16_e32 v51, v101, v61
	v_add_f16_e32 v54, v138, v64
	v_add_f16_e32 v61, v108, v76
	v_add_f16_e32 v76, v109, v78
	v_add_f16_e32 v11, v141, v11
	v_add_f16_e32 v64, v139, v77
	v_add_f16_e32 v50, v142, v50
	v_add_f16_e32 v77, v140, v79
	v_add_f16_e32 v42, v100, v42
	v_add_f16_e32 v8, v55, v8
	ds_write_b16 v48, v7 offset:8
	ds_write_b16 v48, v11 offset:16
	;; [unrolled: 1-line block ×3, first 2 shown]
	v_add_f16_e32 v7, v10, v59
	v_add_f16_e32 v9, v99, v9
	;; [unrolled: 1-line block ×12, first 2 shown]
	ds_write_b16 v48, v54 offset:32
	ds_write_b16 v48, v56 offset:40
	;; [unrolled: 1-line block ×8, first 2 shown]
	ds_write_b16 v48, v7
	ds_write_b16 v48, v9 offset:96
	s_and_saveexec_b32 s1, s0
	s_cbranch_execz .LBB0_17
; %bb.16:
	v_sub_f16_e32 v9, v49, v44
	v_add_f16_e32 v8, v58, v52
	v_sub_f16_e32 v11, v47, v45
	v_add_f16_e32 v10, v53, v6
	v_sub_f16_e32 v50, v41, v43
	v_mul_f16_e32 v64, 0xb3a8, v9
	v_add_f16_e32 v42, v46, v5
	v_mul_f16_e32 v76, 0x3770, v11
	v_sub_f16_e32 v54, v38, v39
	v_mul_f16_e32 v77, 0xb94e, v50
	v_fmamk_f16 v84, v8, 0xbbc4, v64
	v_fma_f16 v64, v8, 0xbbc4, -v64
	v_fmamk_f16 v85, v10, 0x3b15, v76
	v_fma_f16 v76, v10, 0x3b15, -v76
	v_add_f16_e32 v51, v40, v4
	v_sub_f16_e32 v56, v36, v37
	v_add_f16_e32 v64, v31, v64
	v_mul_f16_e32 v78, 0x3a95, v54
	v_fmamk_f16 v88, v42, 0xb9fd, v77
	v_add_f16_e32 v84, v31, v84
	v_fma_f16 v77, v42, 0xb9fd, -v77
	v_add_f16_e32 v64, v76, v64
	v_add_f16_e32 v55, v2, v3
	v_mul_f16_e32 v79, 0xbb7b, v56
	v_mul_f16_e32 v81, 0xb94e, v9
	v_fmamk_f16 v90, v51, 0x388b, v78
	v_add_f16_e32 v84, v85, v84
	v_fma_f16 v78, v51, 0x388b, -v78
	v_add_f16_e32 v64, v77, v64
	v_sub_f16_e32 v61, v34, v35
	v_mul_f16_e32 v82, 0x3bf1, v11
	v_fmamk_f16 v91, v55, 0xb5ac, v79
	v_add_f16_e32 v76, v88, v84
	v_fmamk_f16 v84, v8, 0xb9fd, v81
	v_fma_f16 v79, v55, 0xb5ac, -v79
	v_add_f16_e32 v64, v78, v64
	v_add_f16_e32 v57, v0, v1
	v_mul_f16_e32 v80, 0x3bf1, v61
	v_mul_f16_e32 v83, 0xba95, v50
	v_fmamk_f16 v85, v10, 0x2fb7, v82
	v_add_f16_e32 v77, v31, v84
	v_add_f16_e32 v64, v79, v64
	v_fma_f16 v79, v8, 0xb9fd, -v81
	v_fmamk_f16 v92, v57, 0x2fb7, v80
	v_fmamk_f16 v78, v42, 0x388b, v83
	v_add_f16_e32 v77, v85, v77
	v_mul_f16_e32 v84, 0x33a8, v54
	v_fma_f16 v80, v57, 0x2fb7, -v80
	v_add_f16_e32 v79, v31, v79
	v_fma_f16 v82, v10, 0x2fb7, -v82
	v_add_f16_e32 v77, v78, v77
	v_fmamk_f16 v78, v51, 0xbbc4, v84
	v_mul_f16_e32 v81, 0x3770, v56
	v_add_f16_e32 v64, v80, v64
	v_add_f16_e32 v79, v82, v79
	v_fma_f16 v80, v42, 0x388b, -v83
	v_add_f16_e32 v77, v78, v77
	v_fmamk_f16 v78, v55, 0x3b15, v81
	v_mul_f16_e32 v85, 0xbb7b, v9
	v_mul_f16_e32 v82, 0x394e, v11
	v_add_f16_e32 v79, v80, v79
	v_fma_f16 v80, v51, 0xbbc4, -v84
	v_add_f16_e32 v77, v78, v77
	v_fmamk_f16 v78, v8, 0xb5ac, v85
	v_fmamk_f16 v84, v10, 0xb9fd, v82
	v_mul_f16_e32 v88, 0x3770, v50
	v_add_f16_e32 v79, v80, v79
	v_fma_f16 v80, v55, 0x3b15, -v81
	v_add_f16_e32 v78, v31, v78
	v_mul_f16_e32 v83, 0xbb7b, v61
	v_fmamk_f16 v81, v42, 0x3b15, v88
	v_fma_f16 v82, v10, 0xb9fd, -v82
	v_add_f16_e32 v79, v80, v79
	v_fma_f16 v80, v8, 0xb5ac, -v85
	v_add_f16_e32 v78, v84, v78
	v_mul_f16_e32 v84, 0xbbf1, v54
	v_add_f16_e32 v76, v90, v76
	v_fmamk_f16 v90, v57, 0xb5ac, v83
	v_add_f16_e32 v80, v31, v80
	v_add_f16_e32 v78, v81, v78
	v_fmamk_f16 v81, v51, 0x2fb7, v84
	v_mul_f16_e32 v85, 0x33a8, v56
	v_add_f16_e32 v77, v90, v77
	v_add_f16_e32 v80, v82, v80
	v_fma_f16 v82, v42, 0x3b15, -v88
	v_fma_f16 v83, v57, 0xb5ac, -v83
	v_add_f16_e32 v78, v81, v78
	v_fmamk_f16 v81, v55, 0xbbc4, v85
	v_mul_f16_e32 v90, 0xbbf1, v9
	v_add_f16_e32 v80, v82, v80
	v_fma_f16 v82, v51, 0x2fb7, -v84
	v_add_f16_e32 v79, v83, v79
	v_add_f16_e32 v78, v81, v78
	v_fmamk_f16 v81, v8, 0x2fb7, v90
	v_mul_f16_e32 v83, 0xb3a8, v11
	v_add_f16_e32 v80, v82, v80
	v_fma_f16 v82, v55, 0xbbc4, -v85
	v_add_f16_e32 v76, v91, v76
	v_add_f16_e32 v81, v31, v81
	v_fmamk_f16 v84, v10, 0xbbc4, v83
	v_mul_f16_e32 v91, 0x3b7b, v50
	v_add_f16_e32 v80, v82, v80
	v_fma_f16 v82, v8, 0x2fb7, -v90
	v_mul_f16_e32 v85, 0x3770, v54
	v_add_f16_e32 v81, v84, v81
	v_fmamk_f16 v84, v42, 0xb5ac, v91
	v_fma_f16 v83, v10, 0xbbc4, -v83
	v_add_f16_e32 v82, v31, v82
	v_add_f16_e32 v7, v31, v58
	v_mul_f16_e32 v88, 0x3a95, v61
	v_add_f16_e32 v81, v84, v81
	v_fmamk_f16 v84, v51, 0x3b15, v85
	v_mul_f16_e32 v90, 0xba95, v56
	v_add_f16_e32 v82, v83, v82
	v_fma_f16 v83, v42, 0xb5ac, -v91
	v_add_f16_e32 v7, v7, v53
	v_add_f16_e32 v76, v92, v76
	v_fmamk_f16 v92, v57, 0x388b, v88
	v_fma_f16 v88, v57, 0x388b, -v88
	v_add_f16_e32 v81, v84, v81
	v_fmamk_f16 v84, v55, 0x388b, v90
	v_add_f16_e32 v82, v83, v82
	v_fma_f16 v83, v51, 0x3b15, -v85
	v_add_f16_e32 v7, v7, v46
	v_add_f16_e32 v80, v88, v80
	v_mul_f16_e32 v88, 0xba95, v9
	v_add_f16_e32 v81, v84, v81
	v_mul_f16_e32 v84, 0xb94e, v61
	v_add_f16_e32 v82, v83, v82
	v_fma_f16 v83, v55, 0x388b, -v90
	v_add_f16_e32 v7, v7, v40
	v_add_f16_e32 v78, v92, v78
	v_fmamk_f16 v91, v8, 0x388b, v88
	v_mul_f16_e32 v92, 0xbb7b, v11
	v_fmamk_f16 v85, v57, 0xb9fd, v84
	v_add_f16_e32 v82, v83, v82
	v_fma_f16 v83, v57, 0xb9fd, -v84
	v_fma_f16 v84, v8, 0x388b, -v88
	v_add_f16_e32 v7, v7, v2
	v_add_f16_e32 v91, v31, v91
	v_fmamk_f16 v93, v10, 0xb5ac, v92
	v_mul_f16_e32 v94, 0xb3a8, v50
	v_add_f16_e32 v82, v83, v82
	v_add_f16_e32 v83, v31, v84
	v_fma_f16 v84, v10, 0xb5ac, -v92
	v_mul_f16_e32 v9, 0xb770, v9
	v_add_f16_e32 v7, v7, v0
	v_add_f16_e32 v81, v85, v81
	;; [unrolled: 1-line block ×3, first 2 shown]
	v_mul_f16_e32 v91, 0x394e, v54
	v_add_f16_e32 v83, v84, v83
	v_fma_f16 v84, v42, 0xbbc4, -v94
	v_fma_f16 v93, v8, 0x3b15, -v9
	v_mul_f16_e32 v11, 0xba95, v11
	v_add_f16_e32 v7, v7, v1
	v_fmamk_f16 v88, v51, 0xb9fd, v91
	v_add_f16_e32 v83, v84, v83
	v_fma_f16 v84, v51, 0xb9fd, -v91
	v_fmamk_f16 v8, v8, 0x3b15, v9
	v_add_f16_e32 v9, v31, v93
	v_fma_f16 v91, v10, 0x388b, -v11
	v_mul_f16_e32 v50, 0xbbf1, v50
	v_add_f16_e32 v7, v7, v3
	v_add_f16_e32 v8, v31, v8
	v_fmamk_f16 v10, v10, 0x388b, v11
	v_add_f16_e32 v9, v91, v9
	v_fma_f16 v11, v42, 0x2fb7, -v50
	v_mul_f16_e32 v31, 0xbb7b, v54
	v_fmamk_f16 v90, v42, 0xbbc4, v94
	v_add_f16_e32 v7, v7, v4
	v_add_f16_e32 v8, v10, v8
	v_fmamk_f16 v10, v42, 0x2fb7, v50
	v_add_f16_e32 v9, v11, v9
	v_fma_f16 v11, v51, 0xb5ac, -v31
	v_mul_f16_e32 v42, 0xb94e, v56
	v_add_f16_e32 v85, v90, v85
	v_mul_f16_e32 v90, 0x3bf1, v56
	v_add_f16_e32 v7, v7, v5
	v_add_f16_e32 v8, v10, v8
	v_fmamk_f16 v10, v51, 0xb5ac, v31
	v_add_f16_e32 v9, v11, v9
	v_fma_f16 v11, v55, 0xb9fd, -v42
	v_mul_u32_u24_e32 v31, 52, v33
	v_mul_f16_e32 v51, 0xb3a8, v61
	v_mul_f16_e32 v92, 0x3770, v61
	v_add_f16_e32 v83, v84, v83
	v_fma_f16 v54, v55, 0x2fb7, -v90
	v_add_f16_e32 v7, v7, v6
	v_add_f16_e32 v85, v88, v85
	v_fmamk_f16 v88, v55, 0x2fb7, v90
	v_add_f16_e32 v8, v10, v8
	v_fmamk_f16 v10, v55, 0xb9fd, v42
	v_add_f16_e32 v9, v11, v9
	v_or_b32_e32 v11, v31, v13
	v_fma_f16 v31, v57, 0xbbc4, -v51
	v_add_f16_e32 v50, v54, v83
	v_fma_f16 v42, v57, 0x3b15, -v92
	v_add_f16_e32 v7, v7, v52
	v_add_f16_e32 v85, v88, v85
	v_fmamk_f16 v88, v57, 0x3b15, v92
	v_add_f16_e32 v8, v10, v8
	v_fmamk_f16 v10, v57, 0xbbc4, v51
	v_lshl_add_u32 v11, v11, 1, 0
	v_add_f16_e32 v9, v31, v9
	v_add_f16_e32 v31, v42, v50
	;; [unrolled: 1-line block ×4, first 2 shown]
	ds_write_b16 v11, v7
	ds_write_b16 v11, v9 offset:8
	ds_write_b16 v11, v31 offset:16
	;; [unrolled: 1-line block ×12, first 2 shown]
.LBB0_17:
	s_or_b32 exec_lo, exec_lo, s1
	v_add_f16_e32 v7, v32, v107
	v_sub_f16_e32 v8, v71, v89
	v_add_f16_e32 v9, v107, v104
	v_sub_f16_e32 v11, v70, v59
	v_add_f16_e32 v10, v106, v105
	v_add_f16_e32 v7, v7, v106
	v_mul_f16_e32 v42, 0xba95, v8
	v_mul_f16_e32 v31, 0xb770, v8
	v_mul_f16_e32 v50, 0xbbf1, v8
	v_mul_f16_e32 v51, 0xbb7b, v8
	v_add_f16_e32 v7, v7, v102
	v_mul_f16_e32 v54, 0xb94e, v8
	v_mul_f16_e32 v8, 0xb3a8, v8
	v_mul_f16_e32 v56, 0xbb7b, v11
	v_fmamk_f16 v61, v9, 0x388b, v42
	v_add_f16_e32 v7, v7, v86
	v_mul_f16_e32 v55, 0xba95, v11
	v_fmamk_f16 v59, v9, 0x3b15, v31
	v_fma_f16 v31, v9, 0x3b15, -v31
	v_fma_f16 v42, v9, 0x388b, -v42
	v_add_f16_e32 v7, v7, v74
	v_fmamk_f16 v64, v9, 0x2fb7, v50
	v_fma_f16 v50, v9, 0x2fb7, -v50
	v_fmamk_f16 v70, v9, 0xb5ac, v51
	v_fma_f16 v51, v9, 0xb5ac, -v51
	v_add_f16_e32 v7, v7, v72
	v_fmamk_f16 v71, v9, 0xb9fd, v54
	v_fma_f16 v54, v9, 0xb9fd, -v54
	v_fmamk_f16 v76, v9, 0xbbc4, v8
	v_fma_f16 v8, v9, 0xbbc4, -v8
	v_add_f16_e32 v7, v7, v73
	v_fmamk_f16 v77, v10, 0xb5ac, v56
	v_add_f16_e32 v61, v32, v61
	v_mul_f16_e32 v57, 0xb3a8, v11
	v_fmamk_f16 v9, v10, 0x388b, v55
	v_add_f16_e32 v7, v7, v75
	v_fma_f16 v55, v10, 0x388b, -v55
	v_fma_f16 v56, v10, 0xb5ac, -v56
	v_add_f16_e32 v59, v32, v59
	v_add_f16_e32 v31, v32, v31
	;; [unrolled: 1-line block ×18, first 2 shown]
	v_mul_f16_e32 v7, 0x394e, v11
	v_add_f16_e32 v42, v56, v42
	v_fmamk_f16 v55, v10, 0xbbc4, v57
	v_fma_f16 v56, v10, 0xbbc4, -v57
	v_mul_f16_e32 v57, 0x3bf1, v11
	v_fmamk_f16 v59, v10, 0xb9fd, v7
	v_fma_f16 v7, v10, 0xb9fd, -v7
	v_mul_f16_e32 v11, 0x3770, v11
	v_add_f16_e32 v50, v56, v50
	v_fmamk_f16 v56, v10, 0x2fb7, v57
	v_fma_f16 v57, v10, 0x2fb7, -v57
	v_add_f16_e32 v7, v7, v51
	v_sub_f16_e32 v51, v69, v60
	v_add_f16_e32 v55, v55, v64
	v_add_f16_e32 v60, v102, v103
	v_fmamk_f16 v64, v10, 0x3b15, v11
	v_fma_f16 v10, v10, 0x3b15, -v11
	v_mul_f16_e32 v61, 0xbbf1, v51
	v_add_f16_e32 v11, v57, v54
	v_mul_f16_e32 v54, 0xb3a8, v51
	v_add_f16_e32 v59, v59, v70
	v_add_f16_e32 v8, v10, v8
	v_fmamk_f16 v57, v60, 0x2fb7, v61
	v_fma_f16 v10, v60, 0x2fb7, -v61
	v_fmamk_f16 v61, v60, 0xbbc4, v54
	v_fma_f16 v54, v60, 0xbbc4, -v54
	v_add_f16_e32 v56, v56, v71
	v_add_f16_e32 v9, v57, v9
	v_mul_f16_e32 v57, 0x3b7b, v51
	v_add_f16_e32 v10, v10, v31
	v_add_f16_e32 v31, v61, v32
	v_mul_f16_e32 v32, 0x3770, v51
	v_add_f16_e32 v42, v54, v42
	v_fmamk_f16 v54, v60, 0xb5ac, v57
	v_mul_f16_e32 v61, 0xba95, v51
	v_fma_f16 v57, v60, 0xb5ac, -v57
	v_fmamk_f16 v69, v60, 0x3b15, v32
	v_fma_f16 v32, v60, 0x3b15, -v32
	v_add_f16_e32 v54, v54, v55
	v_fmamk_f16 v55, v60, 0x388b, v61
	v_mul_f16_e32 v51, 0xb94e, v51
	v_add_f16_e32 v50, v57, v50
	v_add_f16_e32 v7, v32, v7
	v_sub_f16_e32 v32, v68, v62
	v_add_f16_e32 v57, v69, v59
	v_add_f16_e32 v55, v55, v56
	v_fma_f16 v56, v60, 0x388b, -v61
	v_add_f16_e32 v59, v86, v87
	v_mul_f16_e32 v61, 0xbb7b, v32
	v_fmamk_f16 v62, v60, 0xb9fd, v51
	v_fma_f16 v51, v60, 0xb9fd, -v51
	v_add_f16_e32 v11, v56, v11
	v_mul_f16_e32 v56, 0x394e, v32
	v_fmamk_f16 v60, v59, 0xb5ac, v61
	v_add_f16_e32 v64, v64, v76
	v_add_f16_e32 v8, v51, v8
	v_fma_f16 v51, v59, 0xb5ac, -v61
	v_fmamk_f16 v61, v59, 0xb9fd, v56
	v_add_f16_e32 v9, v60, v9
	v_fma_f16 v56, v59, 0xb9fd, -v56
	v_mul_f16_e32 v60, 0x3770, v32
	v_add_f16_e32 v10, v51, v10
	v_mul_f16_e32 v51, 0xbbf1, v32
	v_add_f16_e32 v62, v62, v64
	v_add_f16_e32 v31, v61, v31
	;; [unrolled: 1-line block ×3, first 2 shown]
	v_fmamk_f16 v56, v59, 0x3b15, v60
	v_mul_f16_e32 v61, 0x33a8, v32
	v_fmamk_f16 v64, v59, 0x2fb7, v51
	v_fma_f16 v51, v59, 0x2fb7, -v51
	v_fma_f16 v60, v59, 0x3b15, -v60
	v_add_f16_e32 v54, v56, v54
	v_fmamk_f16 v56, v59, 0xbbc4, v61
	v_mul_f16_e32 v32, 0x3a95, v32
	v_add_f16_e32 v7, v51, v7
	v_sub_f16_e32 v51, v67, v63
	v_add_f16_e32 v50, v60, v50
	v_add_f16_e32 v55, v56, v55
	v_fma_f16 v56, v59, 0xbbc4, -v61
	v_add_f16_e32 v60, v74, v75
	v_mul_f16_e32 v61, 0xb94e, v51
	v_fmamk_f16 v63, v59, 0x388b, v32
	v_fma_f16 v32, v59, 0x388b, -v32
	v_add_f16_e32 v11, v56, v11
	v_mul_f16_e32 v56, 0x3bf1, v51
	v_fmamk_f16 v59, v60, 0xb9fd, v61
	v_add_f16_e32 v62, v63, v62
	v_add_f16_e32 v8, v32, v8
	v_fma_f16 v32, v60, 0xb9fd, -v61
	v_fmamk_f16 v61, v60, 0x2fb7, v56
	v_add_f16_e32 v9, v59, v9
	v_mul_f16_e32 v59, 0xba95, v51
	v_fma_f16 v56, v60, 0x2fb7, -v56
	v_add_f16_e32 v10, v32, v10
	v_mul_f16_e32 v32, 0x33a8, v51
	v_add_f16_e32 v31, v61, v31
	v_fmamk_f16 v61, v60, 0x388b, v59
	v_add_f16_e32 v42, v56, v42
	v_fma_f16 v56, v60, 0x388b, -v59
	v_mul_f16_e32 v59, 0x3770, v51
	v_fmamk_f16 v63, v60, 0xbbc4, v32
	v_fma_f16 v32, v60, 0xbbc4, -v32
	v_add_f16_e32 v57, v64, v57
	v_add_f16_e32 v50, v56, v50
	v_fmamk_f16 v56, v60, 0x3b15, v59
	v_add_f16_e32 v54, v61, v54
	v_add_f16_e32 v7, v32, v7
	v_sub_f16_e32 v32, v66, v65
	v_add_f16_e32 v57, v63, v57
	v_mul_f16_e32 v51, 0xbb7b, v51
	v_add_f16_e32 v55, v56, v55
	v_fma_f16 v56, v60, 0x3b15, -v59
	v_add_f16_e32 v61, v72, v73
	v_mul_f16_e32 v63, 0xb3a8, v32
	v_fmamk_f16 v59, v60, 0xb5ac, v51
	v_fma_f16 v51, v60, 0xb5ac, -v51
	v_add_f16_e32 v69, v56, v11
	v_mul_f16_e32 v11, 0x3770, v32
	v_fmamk_f16 v56, v61, 0xbbc4, v63
	v_add_f16_e32 v70, v59, v62
	v_add_f16_e32 v71, v51, v8
	v_fma_f16 v8, v61, 0xbbc4, -v63
	v_mul_f16_e32 v59, 0xb94e, v32
	v_add_f16_e32 v72, v56, v9
	v_fma_f16 v9, v61, 0x3b15, -v11
	v_fmamk_f16 v51, v61, 0x3b15, v11
	v_add_f16_e32 v73, v8, v10
	v_fmamk_f16 v8, v61, 0xb9fd, v59
	v_mul_f16_e32 v10, 0x3a95, v32
	v_add_f16_e32 v75, v9, v42
	v_mul_f16_e32 v9, 0xbb7b, v32
	v_fma_f16 v11, v61, 0xb9fd, -v59
	v_add_f16_e32 v74, v51, v31
	v_add_f16_e32 v76, v8, v54
	v_fmamk_f16 v8, v61, 0x388b, v10
	v_fma_f16 v10, v61, 0x388b, -v10
	v_fmamk_f16 v31, v61, 0xb5ac, v9
	v_add_f16_e32 v78, v11, v50
	v_mul_f16_e32 v11, 0x3bf1, v32
	v_add_f16_e32 v79, v8, v57
	v_add_f16_e32 v80, v10, v7
	;; [unrolled: 1-line block ×3, first 2 shown]
	v_fma_f16 v82, v61, 0xb5ac, -v9
	v_fmamk_f16 v83, v61, 0x2fb7, v11
	v_fma_f16 v84, v61, 0x2fb7, -v11
	s_waitcnt lgkmcnt(0)
	s_barrier
	buffer_gl0_inv
	ds_read_u16 v67, v24 offset:1352
	ds_read_u16 v54, v24 offset:1456
	;; [unrolled: 1-line block ×3, first 2 shown]
	ds_read_u16 v66, v24
	ds_read_u16 v65, v24 offset:104
	ds_read_u16 v51, v24 offset:208
	;; [unrolled: 1-line block ×20, first 2 shown]
	v_add_f16_e32 v69, v82, v69
	v_add_f16_e32 v70, v83, v70
	;; [unrolled: 1-line block ×3, first 2 shown]
	s_waitcnt lgkmcnt(0)
	s_barrier
	buffer_gl0_inv
	ds_write_b16 v48, v77
	ds_write_b16 v48, v72 offset:8
	ds_write_b16 v48, v74 offset:16
	;; [unrolled: 1-line block ×12, first 2 shown]
	s_and_saveexec_b32 s1, s0
	s_cbranch_execz .LBB0_19
; %bb.18:
	v_add_f16_e32 v48, v30, v49
	v_sub_f16_e32 v52, v58, v52
	v_add_f16_e32 v58, v47, v45
	v_add_f16_e32 v49, v49, v44
	v_sub_f16_e32 v6, v53, v6
	v_add_f16_e32 v47, v48, v47
	v_mul_f16_e32 v48, 0xb770, v52
	v_mul_f16_e32 v53, 0xba95, v52
	;; [unrolled: 1-line block ×4, first 2 shown]
	v_add_f16_e32 v47, v47, v41
	v_mul_f16_e32 v71, 0xb94e, v52
	v_mul_f16_e32 v52, 0xb3a8, v52
	v_mul_f16_e32 v72, 0xba95, v6
	v_mul_f16_e32 v73, 0xbb7b, v6
	v_add_f16_e32 v47, v47, v38
	v_fmamk_f16 v76, v49, 0x3b15, v48
	v_fma_f16 v48, v49, 0x3b15, -v48
	v_fmamk_f16 v77, v49, 0x388b, v53
	v_fma_f16 v53, v49, 0x388b, -v53
	v_add_f16_e32 v47, v47, v36
	v_mul_f16_e32 v74, 0xb3a8, v6
	v_mul_f16_e32 v75, 0x394e, v6
	v_fmamk_f16 v78, v49, 0x2fb7, v69
	v_fma_f16 v69, v49, 0x2fb7, -v69
	v_add_f16_e32 v47, v47, v34
	v_fmamk_f16 v79, v49, 0xb5ac, v70
	v_fma_f16 v70, v49, 0xb5ac, -v70
	v_fmamk_f16 v80, v49, 0xb9fd, v71
	v_fma_f16 v71, v49, 0xb9fd, -v71
	v_add_f16_e32 v47, v47, v35
	v_fmamk_f16 v81, v49, 0xbbc4, v52
	v_fma_f16 v49, v49, 0xbbc4, -v52
	;; [unrolled: 5-line block ×3, first 2 shown]
	v_add_f16_e32 v76, v30, v76
	v_add_f16_e32 v48, v30, v48
	;; [unrolled: 1-line block ×17, first 2 shown]
	v_fmamk_f16 v52, v58, 0xbbc4, v74
	v_add_f16_e32 v53, v73, v53
	v_fma_f16 v72, v58, 0xbbc4, -v74
	v_fmamk_f16 v73, v58, 0xb9fd, v75
	v_fma_f16 v74, v58, 0xb9fd, -v75
	v_mul_f16_e32 v75, 0x3bf1, v6
	v_sub_f16_e32 v5, v46, v5
	v_add_f16_e32 v69, v72, v69
	v_add_f16_e32 v72, v73, v79
	v_mul_f16_e32 v6, 0x3770, v6
	v_fma_f16 v73, v58, 0x2fb7, -v75
	v_add_f16_e32 v41, v41, v43
	v_mul_f16_e32 v43, 0xbbf1, v5
	v_add_f16_e32 v70, v74, v70
	v_fmamk_f16 v46, v58, 0x2fb7, v75
	v_fmamk_f16 v74, v58, 0x3b15, v6
	v_fma_f16 v6, v58, 0x3b15, -v6
	v_add_f16_e32 v58, v73, v71
	v_fmamk_f16 v71, v41, 0x2fb7, v43
	v_mul_f16_e32 v73, 0xb3a8, v5
	v_add_f16_e32 v44, v45, v44
	v_add_f16_e32 v45, v82, v77
	;; [unrolled: 1-line block ×3, first 2 shown]
	v_fma_f16 v30, v41, 0x2fb7, -v43
	v_add_f16_e32 v43, v71, v49
	v_fmamk_f16 v49, v41, 0xbbc4, v73
	v_mul_f16_e32 v71, 0x3b7b, v5
	v_add_f16_e32 v52, v52, v78
	v_sub_f16_e32 v4, v40, v4
	v_add_f16_e32 v46, v46, v80
	v_add_f16_e32 v45, v49, v45
	v_fmamk_f16 v49, v41, 0xb5ac, v71
	v_fma_f16 v73, v41, 0xbbc4, -v73
	v_add_f16_e32 v30, v30, v48
	v_mul_f16_e32 v48, 0x3770, v5
	v_add_f16_e32 v38, v38, v39
	v_add_f16_e32 v49, v49, v52
	v_mul_f16_e32 v52, 0xba95, v5
	v_mul_f16_e32 v5, 0xb94e, v5
	;; [unrolled: 1-line block ×3, first 2 shown]
	v_add_f16_e32 v53, v73, v53
	v_fma_f16 v71, v41, 0xb5ac, -v71
	v_fmamk_f16 v40, v41, 0x388b, v52
	v_fma_f16 v52, v41, 0x388b, -v52
	v_fmamk_f16 v73, v41, 0x3b15, v48
	v_fma_f16 v48, v41, 0x3b15, -v48
	v_add_f16_e32 v47, v74, v47
	v_add_f16_e32 v40, v40, v46
	v_fmamk_f16 v46, v41, 0xb9fd, v5
	v_add_f16_e32 v52, v52, v58
	v_fma_f16 v5, v41, 0xb9fd, -v5
	v_fmamk_f16 v41, v38, 0xb5ac, v39
	v_mul_f16_e32 v58, 0x394e, v4
	v_fma_f16 v39, v38, 0xb5ac, -v39
	v_add_f16_e32 v46, v46, v47
	v_add_f16_e32 v5, v5, v6
	;; [unrolled: 1-line block ×3, first 2 shown]
	v_fmamk_f16 v41, v38, 0xb9fd, v58
	v_mul_f16_e32 v43, 0x3770, v4
	v_add_f16_e32 v30, v39, v30
	v_fma_f16 v39, v38, 0xb9fd, -v58
	v_mul_f16_e32 v47, 0xbbf1, v4
	v_add_f16_e32 v41, v41, v45
	v_fmamk_f16 v45, v38, 0x3b15, v43
	v_sub_f16_e32 v2, v2, v3
	v_add_f16_e32 v48, v48, v70
	v_add_f16_e32 v39, v39, v53
	v_fmamk_f16 v53, v38, 0x2fb7, v47
	v_fma_f16 v47, v38, 0x2fb7, -v47
	v_add_f16_e32 v45, v45, v49
	v_mul_f16_e32 v49, 0x33a8, v4
	v_mul_f16_e32 v3, 0x3a95, v4
	v_add_f16_e32 v36, v36, v37
	v_mul_f16_e32 v37, 0xb94e, v2
	v_fma_f16 v43, v38, 0x3b15, -v43
	v_add_f16_e32 v47, v47, v48
	v_fmamk_f16 v4, v38, 0xbbc4, v49
	v_fma_f16 v48, v38, 0xbbc4, -v49
	v_fmamk_f16 v49, v38, 0x388b, v3
	v_fma_f16 v3, v38, 0x388b, -v3
	v_fmamk_f16 v38, v36, 0xb9fd, v37
	v_add_f16_e32 v69, v71, v69
	v_add_f16_e32 v4, v4, v40
	;; [unrolled: 1-line block ×3, first 2 shown]
	v_mul_f16_e32 v48, 0x3bf1, v2
	v_fma_f16 v37, v36, 0xb9fd, -v37
	v_add_f16_e32 v3, v3, v5
	v_add_f16_e32 v5, v38, v6
	v_mul_f16_e32 v6, 0xba95, v2
	v_add_f16_e32 v43, v43, v69
	v_add_f16_e32 v46, v49, v46
	v_fmamk_f16 v38, v36, 0x2fb7, v48
	v_add_f16_e32 v30, v37, v30
	v_fma_f16 v37, v36, 0x2fb7, -v48
	v_mul_f16_e32 v48, 0x33a8, v2
	v_fmamk_f16 v49, v36, 0x388b, v6
	v_fma_f16 v6, v36, 0x388b, -v6
	v_add_f16_e32 v38, v38, v41
	v_sub_f16_e32 v0, v0, v1
	v_add_f16_e32 v34, v34, v35
	v_add_f16_e32 v41, v49, v45
	v_fma_f16 v45, v36, 0xbbc4, -v48
	v_add_f16_e32 v6, v6, v43
	v_mul_f16_e32 v43, 0x3770, v2
	v_mul_f16_e32 v2, 0xbb7b, v2
	;; [unrolled: 1-line block ×3, first 2 shown]
	v_add_f16_e32 v45, v45, v47
	v_add_f16_e32 v71, v73, v72
	v_fmamk_f16 v1, v36, 0x3b15, v43
	v_fma_f16 v43, v36, 0x3b15, -v43
	v_fmamk_f16 v47, v36, 0xb5ac, v2
	v_fma_f16 v2, v36, 0xb5ac, -v2
	v_add_f16_e32 v53, v53, v71
	v_add_f16_e32 v1, v1, v4
	;; [unrolled: 1-line block ×3, first 2 shown]
	v_fmamk_f16 v40, v34, 0xbbc4, v35
	v_fma_f16 v35, v34, 0xbbc4, -v35
	v_mul_f16_e32 v43, 0x3770, v0
	v_add_f16_e32 v2, v2, v3
	v_mul_f16_e32 v3, 0xb94e, v0
	v_add_f16_e32 v37, v37, v39
	v_fmamk_f16 v39, v36, 0xbbc4, v48
	v_add_f16_e32 v36, v47, v46
	v_add_f16_e32 v5, v40, v5
	;; [unrolled: 1-line block ×3, first 2 shown]
	v_fmamk_f16 v35, v34, 0x3b15, v43
	v_fma_f16 v40, v34, 0x3b15, -v43
	v_fmamk_f16 v43, v34, 0xb9fd, v3
	v_mul_f16_e32 v46, 0x3a95, v0
	v_mul_u32_u24_e32 v33, 52, v33
	v_add_f16_e32 v39, v39, v53
	v_fma_f16 v3, v34, 0xb9fd, -v3
	v_add_f16_e32 v35, v35, v38
	v_add_f16_e32 v37, v40, v37
	;; [unrolled: 1-line block ×3, first 2 shown]
	v_fmamk_f16 v40, v34, 0x388b, v46
	v_mul_f16_e32 v41, 0xbb7b, v0
	v_mul_f16_e32 v0, 0x3bf1, v0
	v_or_b32_e32 v13, v33, v13
	v_add_f16_e32 v3, v3, v6
	v_fma_f16 v6, v34, 0x388b, -v46
	v_add_f16_e32 v39, v40, v39
	v_fmamk_f16 v33, v34, 0xb5ac, v41
	v_fma_f16 v40, v34, 0xb5ac, -v41
	v_fmamk_f16 v41, v34, 0x2fb7, v0
	v_fma_f16 v0, v34, 0x2fb7, -v0
	v_lshl_add_u32 v13, v13, 1, 0
	v_add_f16_e32 v6, v6, v45
	v_add_f16_e32 v1, v33, v1
	;; [unrolled: 1-line block ×5, first 2 shown]
	ds_write_b16 v13, v44
	ds_write_b16 v13, v5 offset:8
	ds_write_b16 v13, v35 offset:16
	;; [unrolled: 1-line block ×12, first 2 shown]
.LBB0_19:
	s_or_b32 exec_lo, exec_lo, s1
	v_and_b32_e32 v0, 0xff, v29
	v_and_b32_e32 v1, 0xff, v21
	v_mov_b32_e32 v13, 0
	v_mov_b32_e32 v5, 0x4ec5
	s_waitcnt lgkmcnt(0)
	v_mul_lo_u16 v0, 0x4f, v0
	v_mul_lo_u16 v2, 0x4f, v1
	s_barrier
	v_mul_u32_u24_sdwa v6, v28, v5 dst_sel:DWORD dst_unused:UNUSED_PAD src0_sel:WORD_0 src1_sel:DWORD
	v_mul_u32_u24_sdwa v30, v25, v5 dst_sel:DWORD dst_unused:UNUSED_PAD src0_sel:WORD_0 src1_sel:DWORD
	v_lshrrev_b16 v3, 12, v0
	v_lshlrev_b64 v[0:1], 2, v[12:13]
	v_lshrrev_b16 v4, 12, v2
	v_lshrrev_b32_e32 v33, 20, v6
	v_mul_u32_u24_sdwa v45, v15, v5 dst_sel:DWORD dst_unused:UNUSED_PAD src0_sel:WORD_0 src1_sel:DWORD
	v_mul_lo_u16 v12, v3, 52
	v_mul_u32_u24_sdwa v46, v22, v5 dst_sel:DWORD dst_unused:UNUSED_PAD src0_sel:WORD_0 src1_sel:DWORD
	v_mul_lo_u16 v4, v4, 52
	v_mul_lo_u16 v33, v33, 52
	v_add_co_u32 v2, s0, s8, v0
	v_sub_nc_u16 v12, v29, v12
	v_mul_u32_u24_sdwa v29, v26, v5 dst_sel:DWORD dst_unused:UNUSED_PAD src0_sel:WORD_0 src1_sel:DWORD
	v_sub_nc_u16 v4, v21, v4
	v_lshrrev_b32_e32 v21, 20, v30
	v_add_co_ci_u32_e64 v3, s0, s9, v1, s0
	v_lshrrev_b32_e32 v34, 20, v29
	v_and_b32_e32 v35, 0xff, v4
	v_mul_lo_u16 v4, v21, 52
	v_sub_nc_u16 v21, v28, v33
	buffer_gl0_inv
	v_mul_lo_u16 v34, v34, 52
	global_load_dword v43, v[2:3], off offset:200
	v_sub_nc_u16 v37, v25, v4
	v_and_b32_e32 v38, 0xffff, v21
	v_mul_u32_u24_sdwa v4, v27, v5 dst_sel:DWORD dst_unused:UNUSED_PAD src0_sel:WORD_0 src1_sel:DWORD
	v_sub_nc_u16 v21, v26, v34
	v_mul_u32_u24_sdwa v34, v19, v5 dst_sel:DWORD dst_unused:UNUSED_PAD src0_sel:WORD_0 src1_sel:DWORD
	v_mul_u32_u24_sdwa v5, v23, v5 dst_sel:DWORD dst_unused:UNUSED_PAD src0_sel:WORD_0 src1_sel:DWORD
	v_and_b32_e32 v12, 0xff, v12
	v_lshrrev_b32_e32 v40, 20, v4
	v_and_b32_e32 v41, 0xffff, v21
	v_lshrrev_b32_e32 v21, 20, v34
	v_lshrrev_b32_e32 v5, 20, v5
	v_and_b32_e32 v37, 0xffff, v37
	v_mul_lo_u16 v40, v40, 52
	v_lshlrev_b32_e32 v33, 2, v12
	v_mul_lo_u16 v21, v21, 52
	v_mul_lo_u16 v5, v5, 52
	v_lshlrev_b32_e32 v36, 2, v35
	v_sub_nc_u16 v40, v27, v40
	v_lshlrev_b32_e32 v39, 2, v38
	v_sub_nc_u16 v19, v19, v21
	v_lshrrev_b32_e32 v21, 20, v45
	v_lshrrev_b32_e32 v45, 20, v46
	v_sub_nc_u16 v5, v23, v5
	v_and_b32_e32 v40, 0xffff, v40
	v_and_b32_e32 v46, 0xffff, v19
	v_mul_lo_u16 v19, v21, 52
	v_mul_lo_u16 v21, v45, 52
	v_and_b32_e32 v52, 0xffff, v5
	v_lshlrev_b32_e32 v34, 2, v37
	v_lshlrev_b32_e32 v44, 2, v41
	v_sub_nc_u16 v19, v15, v19
	v_sub_nc_u16 v21, v22, v21
	v_lshlrev_b32_e32 v45, 2, v40
	v_lshlrev_b32_e32 v47, 2, v46
	global_load_dword v33, v33, s[8:9] offset:200
	v_and_b32_e32 v48, 0xffff, v19
	v_and_b32_e32 v49, 0xffff, v21
	v_lshlrev_b32_e32 v21, 2, v52
	s_clause 0x4
	global_load_dword v36, v36, s[8:9] offset:200
	global_load_dword v39, v39, s[8:9] offset:200
	;; [unrolled: 1-line block ×5, first 2 shown]
	v_lshlrev_b32_e32 v5, 2, v48
	v_lshlrev_b32_e32 v19, 2, v49
	s_clause 0x3
	global_load_dword v34, v34, s[8:9] offset:200
	global_load_dword v53, v5, s[8:9] offset:200
	;; [unrolled: 1-line block ×4, first 2 shown]
	ds_read_u16 v70, v24 offset:1352
	ds_read_u16 v71, v24 offset:1456
	;; [unrolled: 1-line block ×3, first 2 shown]
	ds_read_u16 v73, v24
	ds_read_u16 v74, v24 offset:104
	ds_read_u16 v75, v24 offset:208
	;; [unrolled: 1-line block ×12, first 2 shown]
	v_mov_b32_e32 v19, v13
	v_mov_b32_e32 v21, v13
	v_lshrrev_b32_e32 v94, 21, v6
	ds_read_u16 v86, v24 offset:1664
	ds_read_u16 v87, v24 offset:1768
	;; [unrolled: 1-line block ×8, first 2 shown]
	v_lshrrev_b32_e32 v30, 21, v30
	v_lshlrev_b64 v[5:6], 2, v[18:19]
	v_lshlrev_b64 v[18:19], 2, v[20:21]
	v_lshrrev_b32_e32 v95, 21, v29
	s_waitcnt vmcnt(0) lgkmcnt(0)
	v_mul_lo_u16 v96, 0x68, v30
	s_barrier
	v_add_co_u32 v20, s0, s8, v5
	v_add_co_ci_u32_e64 v21, s0, s9, v6, s0
	v_add_co_u32 v29, s0, s8, v18
	v_add_co_ci_u32_e64 v30, s0, s9, v19, s0
	v_lshl_add_u32 v5, v12, 1, 0
	v_lshl_add_u32 v19, v35, 1, 0
	v_lshl_add_u32 v35, v38, 1, 0
	v_lshl_add_u32 v38, v41, 1, 0
	v_lshl_add_u32 v41, v46, 1, 0
	v_lshl_add_u32 v46, v48, 1, 0
	v_lshl_add_u32 v48, v49, 1, 0
	v_lshl_add_u32 v49, v52, 1, 0
	buffer_gl0_inv
	v_mul_lo_u16 v94, 0x68, v94
	v_lshrrev_b32_e32 v4, 21, v4
	v_lshl_add_u32 v37, v37, 1, 0
	v_lshl_add_u32 v40, v40, 1, 0
	v_sub_nc_u16 v25, v25, v96
	v_mul_lo_u16 v4, 0x68, v4
	v_sub_nc_u16 v4, v27, v4
	v_mul_f16_sdwa v6, v84, v43 dst_sel:DWORD dst_unused:UNUSED_PAD src0_sel:DWORD src1_sel:WORD_1
	v_mul_f16_sdwa v12, v68, v43 dst_sel:DWORD dst_unused:UNUSED_PAD src0_sel:DWORD src1_sel:WORD_1
	;; [unrolled: 1-line block ×4, first 2 shown]
	v_fma_f16 v6, v68, v43, -v6
	v_fmac_f16_e32 v12, v84, v43
	v_fma_f16 v18, v67, v43, -v18
	v_fmac_f16_e32 v52, v70, v43
	v_sub_f16_e32 v6, v66, v6
	v_sub_f16_e32 v43, v73, v12
	;; [unrolled: 1-line block ×4, first 2 shown]
	ds_write_b16 v24, v6 offset:104
	ds_write_b16 v24, v12 offset:312
	v_fma_f16 v18, v66, 2.0, -v6
	v_fma_f16 v66, v73, 2.0, -v43
	;; [unrolled: 1-line block ×4, first 2 shown]
	ds_write_b16 v24, v18
	ds_write_b16 v24, v65 offset:208
	v_mul_f16_sdwa v6, v71, v33 dst_sel:DWORD dst_unused:UNUSED_PAD src0_sel:DWORD src1_sel:WORD_1
	v_mul_f16_sdwa v12, v54, v33 dst_sel:DWORD dst_unused:UNUSED_PAD src0_sel:DWORD src1_sel:WORD_1
	;; [unrolled: 1-line block ×20, first 2 shown]
	v_fma_f16 v6, v54, v33, -v6
	v_fmac_f16_e32 v12, v71, v33
	v_fma_f16 v18, v55, v36, -v68
	v_fmac_f16_e32 v70, v72, v36
	;; [unrolled: 2-line block ×6, first 2 shown]
	v_fma_f16 v44, v60, v47, -v102
	v_fma_f16 v45, v59, v53, -v104
	v_fmac_f16_e32 v105, v91, v53
	v_fma_f16 v53, v56, v69, -v108
	v_fmac_f16_e32 v103, v90, v47
	;; [unrolled: 2-line block ×3, first 2 shown]
	v_fmac_f16_e32 v109, v93, v69
	v_sub_f16_e32 v6, v51, v6
	v_sub_f16_e32 v54, v75, v12
	;; [unrolled: 1-line block ×20, first 2 shown]
	v_fma_f16 v51, v51, 2.0, -v6
	v_fma_f16 v63, v75, 2.0, -v54
	;; [unrolled: 1-line block ×20, first 2 shown]
	ds_write_b16 v5, v6 offset:520
	ds_write_b16 v19, v12 offset:728
	;; [unrolled: 1-line block ×20, first 2 shown]
	s_waitcnt lgkmcnt(0)
	s_barrier
	buffer_gl0_inv
	ds_read_u16 v18, v24
	ds_read_u16 v12, v24 offset:104
	ds_read_u16 v11, v24 offset:208
	;; [unrolled: 1-line block ×23, first 2 shown]
	s_waitcnt lgkmcnt(0)
	s_barrier
	buffer_gl0_inv
	ds_write_b16 v24, v66
	ds_write_b16 v24, v43 offset:104
	ds_write_b16 v24, v67 offset:208
	;; [unrolled: 1-line block ×23, first 2 shown]
	s_waitcnt lgkmcnt(0)
	s_barrier
	buffer_gl0_inv
	global_load_dwordx2 v[19:20], v[20:21], off offset:408
	v_sub_nc_u16 v5, v28, v94
	v_mul_lo_u16 v21, 0x68, v95
	v_and_b32_e32 v38, 0xffff, v4
	global_load_dwordx2 v[28:29], v[29:30], off offset:408
	v_and_b32_e32 v37, 0xffff, v5
	v_sub_nc_u16 v5, v26, v21
	v_and_b32_e32 v21, 0xffff, v25
	v_lshlrev_b32_e32 v25, 3, v37
	v_and_b32_e32 v27, 0xffff, v5
	v_lshlrev_b32_e32 v5, 3, v21
	v_lshl_add_u32 v37, v37, 1, 0
	v_lshl_add_u32 v21, v21, 1, 0
	global_load_dwordx2 v[25:26], v25, s[8:9] offset:408
	v_lshlrev_b32_e32 v4, 3, v27
	global_load_dwordx2 v[30:31], v5, s[8:9] offset:408
	v_lshlrev_b32_e32 v5, 3, v38
	s_clause 0x1
	global_load_dwordx2 v[32:33], v4, s[8:9] offset:408
	global_load_dwordx2 v[34:35], v5, s[8:9] offset:408
	ds_read_u16 v40, v24 offset:832
	ds_read_u16 v41, v24 offset:936
	;; [unrolled: 1-line block ×5, first 2 shown]
	ds_read_u16 v49, v24
	ds_read_u16 v52, v24 offset:104
	ds_read_u16 v54, v24 offset:208
	;; [unrolled: 1-line block ×18, first 2 shown]
	v_add_co_u32 v4, s0, 0x340, v2
	v_add_co_ci_u32_e64 v5, s0, 0, v3, s0
	v_lshl_add_u32 v27, v27, 1, 0
	v_lshl_add_u32 v38, v38, 1, 0
	s_waitcnt vmcnt(0) lgkmcnt(0)
	s_barrier
	buffer_gl0_inv
	v_mul_f16_sdwa v71, v40, v19 dst_sel:DWORD dst_unused:UNUSED_PAD src0_sel:DWORD src1_sel:WORD_1
	v_mul_f16_sdwa v72, v36, v19 dst_sel:DWORD dst_unused:UNUSED_PAD src0_sel:DWORD src1_sel:WORD_1
	;; [unrolled: 1-line block ×32, first 2 shown]
	v_fma_f16 v36, v36, v19, -v71
	v_fmac_f16_e32 v72, v40, v19
	v_fma_f16 v40, v53, v20, -v73
	v_fmac_f16_e32 v74, v43, v20
	;; [unrolled: 2-line block ×16, first 2 shown]
	v_add_f16_e32 v86, v103, v105
	v_add_f16_e32 v35, v18, v36
	;; [unrolled: 1-line block ×19, first 2 shown]
	v_sub_f16_e32 v62, v87, v89
	v_add_f16_e32 v63, v54, v87
	v_add_f16_e32 v70, v9, v29
	;; [unrolled: 1-line block ×4, first 2 shown]
	v_sub_f16_e32 v31, v31, v32
	v_add_f16_e32 v87, v6, v33
	v_sub_f16_e32 v90, v107, v109
	v_fmac_f16_e32 v58, -0.5, v86
	v_fmac_f16_e32 v6, -0.5, v88
	v_sub_f16_e32 v44, v72, v74
	v_add_f16_e32 v45, v49, v72
	v_sub_f16_e32 v36, v36, v40
	v_sub_f16_e32 v50, v83, v85
	v_add_f16_e32 v51, v52, v83
	v_sub_f16_e32 v39, v39, v41
	v_sub_f16_e32 v42, v42, v19
	;; [unrolled: 1-line block ×3, first 2 shown]
	v_add_f16_e32 v68, v55, v91
	v_sub_f16_e32 v20, v20, v28
	v_sub_f16_e32 v72, v95, v97
	v_add_f16_e32 v73, v56, v95
	v_sub_f16_e32 v29, v29, v25
	v_add_f16_e32 v76, v8, v26
	;; [unrolled: 2-line block ×3, first 2 shown]
	v_sub_f16_e32 v26, v26, v30
	v_sub_f16_e32 v83, v103, v105
	v_add_f16_e32 v92, v107, v109
	v_add_f16_e32 v35, v35, v40
	v_fmac_f16_e32 v18, -0.5, v43
	v_fmac_f16_e32 v49, -0.5, v46
	;; [unrolled: 1-line block ×13, first 2 shown]
	v_add_f16_e32 v41, v47, v41
	v_add_f16_e32 v19, v60, v19
	;; [unrolled: 1-line block ×4, first 2 shown]
	v_fmamk_f16 v65, v31, 0xbaee, v58
	v_fmac_f16_e32 v58, 0x3aee, v31
	v_fmamk_f16 v31, v90, 0x3aee, v6
	v_fmac_f16_e32 v6, 0xbaee, v90
	v_add_f16_e32 v91, v59, v107
	v_sub_f16_e32 v33, v33, v34
	v_add_f16_e32 v40, v45, v74
	v_add_f16_e32 v45, v63, v89
	;; [unrolled: 1-line block ×5, first 2 shown]
	v_fmac_f16_e32 v59, -0.5, v92
	v_fmamk_f16 v60, v44, 0x3aee, v18
	v_fmac_f16_e32 v18, 0xbaee, v44
	v_fmamk_f16 v44, v36, 0xbaee, v49
	v_fmac_f16_e32 v49, 0x3aee, v36
	;; [unrolled: 2-line block ×13, first 2 shown]
	ds_write_b16 v24, v35
	ds_write_b16 v24, v41 offset:104
	ds_write_b16 v24, v19 offset:624
	;; [unrolled: 1-line block ×23, first 2 shown]
	v_add_co_u32 v6, s0, 0x410, v2
	v_add_co_ci_u32_e64 v7, s0, 0, v3, s0
	v_add_f16_e32 v43, v51, v85
	v_add_f16_e32 v46, v68, v93
	;; [unrolled: 1-line block ×6, first 2 shown]
	v_fmamk_f16 v66, v33, 0xbaee, v59
	v_fmac_f16_e32 v59, 0x3aee, v33
	s_waitcnt lgkmcnt(0)
	s_barrier
	buffer_gl0_inv
	ds_read_u16 v8, v24 offset:1352
	ds_read_u16 v9, v24 offset:1456
	ds_read_u16 v10, v24 offset:1560
	ds_read_u16 v11, v24
	ds_read_u16 v12, v24 offset:104
	ds_read_u16 v18, v24 offset:208
	;; [unrolled: 1-line block ×20, first 2 shown]
	s_waitcnt lgkmcnt(0)
	s_barrier
	buffer_gl0_inv
	ds_write_b16 v24, v40
	ds_write_b16 v24, v44 offset:208
	ds_write_b16 v24, v49 offset:416
	;; [unrolled: 1-line block ×23, first 2 shown]
	s_waitcnt lgkmcnt(0)
	s_barrier
	buffer_gl0_inv
	s_clause 0x5
	global_load_dword v21, v[2:3], off offset:1240
	global_load_dword v27, v[2:3], off offset:1448
	;; [unrolled: 1-line block ×6, first 2 shown]
	ds_read_u16 v44, v24 offset:1248
	ds_read_u16 v45, v24 offset:1352
	;; [unrolled: 1-line block ×5, first 2 shown]
	ds_read_u16 v49, v24
	ds_read_u16 v50, v24 offset:104
	ds_read_u16 v51, v24 offset:208
	ds_read_u16 v52, v24 offset:312
	ds_read_u16 v53, v24 offset:416
	ds_read_u16 v54, v24 offset:520
	ds_read_u16 v55, v24 offset:624
	ds_read_u16 v56, v24 offset:728
	ds_read_u16 v57, v24 offset:832
	ds_read_u16 v58, v24 offset:936
	ds_read_u16 v59, v24 offset:1040
	ds_read_u16 v61, v24 offset:1144
	ds_read_u16 v62, v24 offset:1768
	ds_read_u16 v63, v24 offset:1872
	ds_read_u16 v64, v24 offset:1976
	ds_read_u16 v65, v24 offset:2080
	ds_read_u16 v66, v24 offset:2184
	ds_read_u16 v68, v24 offset:2288
	ds_read_u16 v69, v24 offset:2392
	s_waitcnt vmcnt(0) lgkmcnt(0)
	s_barrier
	buffer_gl0_inv
	v_mul_f16_sdwa v70, v44, v21 dst_sel:DWORD dst_unused:UNUSED_PAD src0_sel:DWORD src1_sel:WORD_1
	v_mul_f16_sdwa v71, v32, v21 dst_sel:DWORD dst_unused:UNUSED_PAD src0_sel:DWORD src1_sel:WORD_1
	;; [unrolled: 1-line block ×22, first 2 shown]
	v_fma_f16 v32, v32, v21, -v70
	v_fmac_f16_e32 v71, v44, v21
	v_fma_f16 v8, v8, v27, -v72
	v_fmac_f16_e32 v73, v45, v27
	;; [unrolled: 2-line block ×4, first 2 shown]
	v_fma_f16 v34, v34, v40, -v78
	v_fma_f16 v35, v35, v43, -v80
	;; [unrolled: 1-line block ×3, first 2 shown]
	v_fmac_f16_e32 v83, v63, v21
	v_fma_f16 v21, v39, v27, -v84
	v_fmac_f16_e32 v85, v64, v27
	v_fma_f16 v27, v41, v37, -v86
	;; [unrolled: 2-line block ×4, first 2 shown]
	v_fma_f16 v39, v67, v43, -v92
	v_sub_f16_e32 v32, v11, v32
	v_sub_f16_e32 v9, v18, v9
	;; [unrolled: 1-line block ×11, first 2 shown]
	v_mul_f16_sdwa v91, v60, v40 dst_sel:DWORD dst_unused:UNUSED_PAD src0_sel:DWORD src1_sel:WORD_1
	v_sub_f16_e32 v8, v12, v8
	v_fma_f16 v11, v11, 2.0, -v32
	v_fma_f16 v18, v18, 2.0, -v9
	;; [unrolled: 1-line block ×11, first 2 shown]
	v_fmac_f16_e32 v79, v48, v40
	v_fmac_f16_e32 v91, v68, v40
	v_fma_f16 v12, v12, 2.0, -v8
	ds_write_b16 v24, v32 offset:624
	ds_write_b16 v24, v8 offset:728
	;; [unrolled: 1-line block ×12, first 2 shown]
	ds_write_b16 v24, v11
	ds_write_b16 v24, v12 offset:104
	ds_write_b16 v24, v18 offset:208
	;; [unrolled: 1-line block ×11, first 2 shown]
	s_waitcnt lgkmcnt(0)
	s_barrier
	buffer_gl0_inv
	ds_read_u16 v19, v24 offset:1352
	ds_read_u16 v21, v24 offset:1456
	;; [unrolled: 1-line block ×3, first 2 shown]
	ds_read_u16 v11, v24
	ds_read_u16 v8, v24 offset:104
	ds_read_u16 v9, v24 offset:208
	;; [unrolled: 1-line block ×20, first 2 shown]
	v_mul_f16_sdwa v93, v67, v43 dst_sel:DWORD dst_unused:UNUSED_PAD src0_sel:DWORD src1_sel:WORD_1
	v_fmac_f16_e32 v81, v62, v43
	v_sub_f16_e32 v41, v49, v71
	v_sub_f16_e32 v42, v50, v73
	;; [unrolled: 1-line block ×3, first 2 shown]
	v_fmac_f16_e32 v93, v69, v43
	v_sub_f16_e32 v43, v51, v75
	v_sub_f16_e32 v45, v53, v79
	;; [unrolled: 1-line block ×9, first 2 shown]
	v_fma_f16 v49, v49, 2.0, -v41
	v_fma_f16 v50, v50, 2.0, -v42
	;; [unrolled: 1-line block ×12, first 2 shown]
	s_waitcnt lgkmcnt(0)
	s_barrier
	buffer_gl0_inv
	ds_write_b16 v24, v49
	ds_write_b16 v24, v41 offset:624
	ds_write_b16 v24, v50 offset:104
	;; [unrolled: 1-line block ×23, first 2 shown]
	s_waitcnt lgkmcnt(0)
	s_barrier
	buffer_gl0_inv
	s_and_saveexec_b32 s0, vcc_lo
	s_cbranch_execz .LBB0_21
; %bb.20:
	v_add_co_u32 v41, vcc_lo, 0x1000, v2
	v_add_co_ci_u32_e32 v42, vcc_lo, 0, v3, vcc_lo
	v_add_co_u32 v6, vcc_lo, 0x800, v6
	v_add_co_ci_u32_e32 v7, vcc_lo, 0, v7, vcc_lo
	;; [unrolled: 2-line block ×4, first 2 shown]
	s_clause 0x7
	global_load_dword v45, v[41:42], off offset:680
	global_load_dword v46, v[6:7], off offset:440
	;; [unrolled: 1-line block ×8, first 2 shown]
	v_add_co_u32 v6, vcc_lo, 0xd0, v2
	v_add_co_ci_u32_e32 v7, vcc_lo, 0, v3, vcc_lo
	global_load_dword v53, v[4:5], off offset:440
	v_add_co_u32 v4, vcc_lo, 0x270, v2
	v_add_co_ci_u32_e32 v5, vcc_lo, 0, v3, vcc_lo
	v_add_co_u32 v12, vcc_lo, 0x1a0, v2
	v_add_co_ci_u32_e32 v41, vcc_lo, 0, v3, vcc_lo
	;; [unrolled: 2-line block ×5, first 2 shown]
	s_clause 0x2
	global_load_dword v54, v[2:3], off offset:440
	global_load_dword v55, v[4:5], off offset:440
	;; [unrolled: 1-line block ×3, first 2 shown]
	v_lshrrev_b32_e32 v2, 4, v15
	v_lshrrev_b32_e32 v3, 4, v22
	ds_read_u16 v57, v24 offset:1560
	ds_read_u16 v58, v24 offset:1456
	;; [unrolled: 1-line block ×23, first 2 shown]
	ds_read_u16 v24, v24
	v_add_co_u32 v41, vcc_lo, s2, v16
	v_mul_hi_u32 v5, 0x1a41a41b, v2
	v_mov_b32_e32 v15, v13
	v_lshrrev_b32_e32 v4, 4, v23
	v_mul_hi_u32 v6, 0x1a41a41b, v3
	v_add_co_ci_u32_e32 v42, vcc_lo, s3, v17, vcc_lo
	v_add_co_u32 v0, vcc_lo, v41, v0
	v_lshrrev_b32_e32 v7, 2, v5
	v_lshlrev_b64 v[2:3], 2, v[14:15]
	v_mul_hi_u32 v14, 0x1a41a41b, v4
	v_add_co_ci_u32_e32 v1, vcc_lo, v42, v1, vcc_lo
	v_mul_u32_u24_e32 v12, 0x270, v7
	v_lshrrev_b32_e32 v16, 2, v6
	v_add_co_u32 v4, vcc_lo, 0x800, v0
	v_add_co_ci_u32_e32 v5, vcc_lo, 0, v1, vcc_lo
	v_add_co_u32 v6, vcc_lo, 0x1000, v0
	v_lshrrev_b32_e32 v43, 2, v14
	v_lshlrev_b64 v[14:15], 2, v[12:13]
	v_mad_u32_u24 v12, 0x270, v16, v22
	v_add_co_ci_u32_e32 v7, vcc_lo, 0, v1, vcc_lo
	v_add_co_u32 v2, vcc_lo, v41, v2
	v_add_co_ci_u32_e32 v3, vcc_lo, v42, v3, vcc_lo
	v_lshlrev_b64 v[16:17], 2, v[12:13]
	v_mad_u32_u24 v12, 0x270, v43, v23
	v_add_co_u32 v14, vcc_lo, v0, v14
	v_add_co_ci_u32_e32 v15, vcc_lo, v1, v15, vcc_lo
	v_lshlrev_b64 v[12:13], 2, v[12:13]
	v_add_co_u32 v22, vcc_lo, 0x1000, v14
	v_add_co_ci_u32_e32 v23, vcc_lo, 0, v15, vcc_lo
	v_add_co_u32 v16, vcc_lo, v41, v16
	v_add_co_ci_u32_e32 v17, vcc_lo, v42, v17, vcc_lo
	;; [unrolled: 2-line block ×5, first 2 shown]
	s_waitcnt vmcnt(11)
	v_lshrrev_b32_e32 v80, 16, v45
	s_waitcnt lgkmcnt(15)
	v_mul_f16_e32 v81, v45, v65
	s_waitcnt vmcnt(9)
	v_lshrrev_b32_e32 v88, 16, v47
	s_waitcnt lgkmcnt(11)
	v_mul_f16_e32 v89, v47, v69
	s_waitcnt vmcnt(7)
	v_lshrrev_b32_e32 v96, 16, v49
	v_lshrrev_b32_e32 v92, 16, v46
	s_waitcnt vmcnt(5)
	v_lshrrev_b32_e32 v84, 16, v51
	v_mul_f16_e32 v85, v51, v67
	v_lshrrev_b32_e32 v90, 16, v48
	v_lshrrev_b32_e32 v82, 16, v50
	v_mul_f16_e32 v83, v50, v66
	s_waitcnt vmcnt(4)
	v_lshrrev_b32_e32 v86, 16, v52
	s_waitcnt vmcnt(3)
	v_lshrrev_b32_e32 v94, 16, v53
	v_mul_f16_e32 v87, v52, v68
	s_waitcnt lgkmcnt(10)
	v_mul_f16_e32 v91, v48, v70
	v_mul_f16_e32 v97, v49, v60
	;; [unrolled: 1-line block ×3, first 2 shown]
	v_fmac_f16_e32 v81, v40, v80
	v_mul_f16_e32 v67, v84, v67
	v_fmac_f16_e32 v85, v38, v84
	v_mul_f16_e32 v69, v88, v69
	;; [unrolled: 2-line block ×3, first 2 shown]
	s_waitcnt lgkmcnt(8)
	v_mul_f16_e32 v95, v53, v72
	v_mul_f16_e32 v72, v94, v72
	;; [unrolled: 1-line block ×6, first 2 shown]
	v_fmac_f16_e32 v83, v39, v82
	v_mul_f16_e32 v68, v86, v68
	v_fmac_f16_e32 v87, v37, v86
	s_waitcnt vmcnt(2)
	v_lshrrev_b32_e32 v80, 16, v54
	s_waitcnt vmcnt(1)
	v_lshrrev_b32_e32 v84, 16, v55
	;; [unrolled: 2-line block ×3, first 2 shown]
	v_fmac_f16_e32 v91, v35, v90
	v_mul_f16_e32 v82, v54, v57
	v_mul_f16_e32 v86, v55, v58
	v_mul_f16_e32 v90, v56, v59
	v_fmac_f16_e32 v97, v32, v96
	v_mul_f16_e32 v57, v80, v57
	v_mul_f16_e32 v58, v84, v58
	;; [unrolled: 1-line block ×3, first 2 shown]
	v_fma_f16 v32, v32, v49, -v60
	v_fmac_f16_e32 v95, v33, v94
	v_fma_f16 v33, v33, v53, -v72
	v_fmac_f16_e32 v93, v34, v92
	v_fma_f16 v34, v34, v46, -v71
	v_fma_f16 v35, v35, v48, -v70
	;; [unrolled: 1-line block ×7, first 2 shown]
	v_fmac_f16_e32 v82, v27, v80
	v_fmac_f16_e32 v86, v21, v84
	;; [unrolled: 1-line block ×3, first 2 shown]
	s_waitcnt lgkmcnt(0)
	v_sub_f16_e32 v49, v24, v97
	v_fma_f16 v27, v27, v54, -v57
	v_fma_f16 v21, v21, v55, -v58
	v_fma_f16 v19, v19, v56, -v59
	v_sub_f16_e32 v32, v11, v32
	v_sub_f16_e32 v53, v76, v95
	;; [unrolled: 1-line block ×20, first 2 shown]
	v_fma_f16 v24, v24, 2.0, -v49
	v_sub_f16_e32 v27, v10, v27
	v_sub_f16_e32 v21, v9, v21
	;; [unrolled: 1-line block ×3, first 2 shown]
	v_fma_f16 v11, v11, 2.0, -v32
	v_fma_f16 v67, v76, 2.0, -v53
	;; [unrolled: 1-line block ×5, first 2 shown]
	v_pack_b32_f16 v33, v33, v53
	v_fma_f16 v65, v74, 2.0, -v48
	v_fma_f16 v25, v25, 2.0, -v35
	;; [unrolled: 1-line block ×15, first 2 shown]
	v_pack_b32_f16 v32, v32, v49
	v_pack_b32_f16 v34, v34, v46
	;; [unrolled: 1-line block ×6, first 2 shown]
	v_fma_f16 v10, v10, 2.0, -v27
	v_fma_f16 v9, v9, 2.0, -v21
	;; [unrolled: 1-line block ×3, first 2 shown]
	v_pack_b32_f16 v11, v11, v24
	v_pack_b32_f16 v19, v19, v56
	;; [unrolled: 1-line block ×5, first 2 shown]
	global_store_dword v[2:3], v33, off
	v_pack_b32_f16 v2, v20, v66
	v_pack_b32_f16 v3, v25, v65
	;; [unrolled: 1-line block ×5, first 2 shown]
	global_store_dword v[4:5], v32, off offset:448
	global_store_dword v[4:5], v34, off offset:1488
	;; [unrolled: 1-line block ×4, first 2 shown]
	v_pack_b32_f16 v25, v28, v63
	global_store_dword v[6:7], v37, off offset:64
	v_pack_b32_f16 v6, v29, v62
	global_store_dword v[22:23], v38, off offset:272
	v_pack_b32_f16 v7, v30, v61
	v_pack_b32_f16 v22, v31, v60
	global_store_dword v[0:1], v11, off
	v_pack_b32_f16 v8, v8, v59
	global_store_dword v[4:5], v19, off offset:656
	v_pack_b32_f16 v9, v9, v58
	global_store_dword v[4:5], v21, off offset:864
	;; [unrolled: 2-line block ×3, first 2 shown]
	global_store_dword v[0:1], v18, off offset:832
	global_store_dword v[0:1], v2, off offset:1040
	global_store_dword v[0:1], v3, off offset:1248
	global_store_dword v[0:1], v20, off offset:1456
	global_store_dword v[0:1], v25, off offset:1664
	global_store_dword v[14:15], v6, off offset:1872
	global_store_dword v[41:42], v39, off offset:448
	global_store_dword v[0:1], v8, off offset:208
	global_store_dword v[0:1], v9, off offset:416
	global_store_dword v[0:1], v10, off offset:624
	global_store_dword v[16:17], v7, off
	global_store_dword v[12:13], v22, off
	global_store_dword v[43:44], v40, off offset:448
.LBB0_21:
	s_endpgm
	.section	.rodata,"a",@progbits
	.p2align	6, 0x0
	.amdhsa_kernel fft_rtc_fwd_len1248_factors_2_2_13_2_3_2_2_wgs_52_tpt_52_halfLds_half_ip_CI_unitstride_sbrr_dirReg
		.amdhsa_group_segment_fixed_size 0
		.amdhsa_private_segment_fixed_size 0
		.amdhsa_kernarg_size 88
		.amdhsa_user_sgpr_count 6
		.amdhsa_user_sgpr_private_segment_buffer 1
		.amdhsa_user_sgpr_dispatch_ptr 0
		.amdhsa_user_sgpr_queue_ptr 0
		.amdhsa_user_sgpr_kernarg_segment_ptr 1
		.amdhsa_user_sgpr_dispatch_id 0
		.amdhsa_user_sgpr_flat_scratch_init 0
		.amdhsa_user_sgpr_private_segment_size 0
		.amdhsa_wavefront_size32 1
		.amdhsa_uses_dynamic_stack 0
		.amdhsa_system_sgpr_private_segment_wavefront_offset 0
		.amdhsa_system_sgpr_workgroup_id_x 1
		.amdhsa_system_sgpr_workgroup_id_y 0
		.amdhsa_system_sgpr_workgroup_id_z 0
		.amdhsa_system_sgpr_workgroup_info 0
		.amdhsa_system_vgpr_workitem_id 0
		.amdhsa_next_free_vgpr 146
		.amdhsa_next_free_sgpr 21
		.amdhsa_reserve_vcc 1
		.amdhsa_reserve_flat_scratch 0
		.amdhsa_float_round_mode_32 0
		.amdhsa_float_round_mode_16_64 0
		.amdhsa_float_denorm_mode_32 3
		.amdhsa_float_denorm_mode_16_64 3
		.amdhsa_dx10_clamp 1
		.amdhsa_ieee_mode 1
		.amdhsa_fp16_overflow 0
		.amdhsa_workgroup_processor_mode 1
		.amdhsa_memory_ordered 1
		.amdhsa_forward_progress 0
		.amdhsa_shared_vgpr_count 0
		.amdhsa_exception_fp_ieee_invalid_op 0
		.amdhsa_exception_fp_denorm_src 0
		.amdhsa_exception_fp_ieee_div_zero 0
		.amdhsa_exception_fp_ieee_overflow 0
		.amdhsa_exception_fp_ieee_underflow 0
		.amdhsa_exception_fp_ieee_inexact 0
		.amdhsa_exception_int_div_zero 0
	.end_amdhsa_kernel
	.text
.Lfunc_end0:
	.size	fft_rtc_fwd_len1248_factors_2_2_13_2_3_2_2_wgs_52_tpt_52_halfLds_half_ip_CI_unitstride_sbrr_dirReg, .Lfunc_end0-fft_rtc_fwd_len1248_factors_2_2_13_2_3_2_2_wgs_52_tpt_52_halfLds_half_ip_CI_unitstride_sbrr_dirReg
                                        ; -- End function
	.section	.AMDGPU.csdata,"",@progbits
; Kernel info:
; codeLenInByte = 19380
; NumSgprs: 23
; NumVgprs: 146
; ScratchSize: 0
; MemoryBound: 0
; FloatMode: 240
; IeeeMode: 1
; LDSByteSize: 0 bytes/workgroup (compile time only)
; SGPRBlocks: 2
; VGPRBlocks: 18
; NumSGPRsForWavesPerEU: 23
; NumVGPRsForWavesPerEU: 146
; Occupancy: 6
; WaveLimiterHint : 1
; COMPUTE_PGM_RSRC2:SCRATCH_EN: 0
; COMPUTE_PGM_RSRC2:USER_SGPR: 6
; COMPUTE_PGM_RSRC2:TRAP_HANDLER: 0
; COMPUTE_PGM_RSRC2:TGID_X_EN: 1
; COMPUTE_PGM_RSRC2:TGID_Y_EN: 0
; COMPUTE_PGM_RSRC2:TGID_Z_EN: 0
; COMPUTE_PGM_RSRC2:TIDIG_COMP_CNT: 0
	.text
	.p2alignl 6, 3214868480
	.fill 48, 4, 3214868480
	.type	__hip_cuid_a5cadaf94f5f491,@object ; @__hip_cuid_a5cadaf94f5f491
	.section	.bss,"aw",@nobits
	.globl	__hip_cuid_a5cadaf94f5f491
__hip_cuid_a5cadaf94f5f491:
	.byte	0                               ; 0x0
	.size	__hip_cuid_a5cadaf94f5f491, 1

	.ident	"AMD clang version 19.0.0git (https://github.com/RadeonOpenCompute/llvm-project roc-6.4.0 25133 c7fe45cf4b819c5991fe208aaa96edf142730f1d)"
	.section	".note.GNU-stack","",@progbits
	.addrsig
	.addrsig_sym __hip_cuid_a5cadaf94f5f491
	.amdgpu_metadata
---
amdhsa.kernels:
  - .args:
      - .actual_access:  read_only
        .address_space:  global
        .offset:         0
        .size:           8
        .value_kind:     global_buffer
      - .offset:         8
        .size:           8
        .value_kind:     by_value
      - .actual_access:  read_only
        .address_space:  global
        .offset:         16
        .size:           8
        .value_kind:     global_buffer
      - .actual_access:  read_only
        .address_space:  global
        .offset:         24
        .size:           8
        .value_kind:     global_buffer
      - .offset:         32
        .size:           8
        .value_kind:     by_value
      - .actual_access:  read_only
        .address_space:  global
        .offset:         40
        .size:           8
        .value_kind:     global_buffer
      - .actual_access:  read_only
        .address_space:  global
        .offset:         48
        .size:           8
        .value_kind:     global_buffer
      - .offset:         56
        .size:           4
        .value_kind:     by_value
      - .actual_access:  read_only
        .address_space:  global
        .offset:         64
        .size:           8
        .value_kind:     global_buffer
      - .actual_access:  read_only
        .address_space:  global
        .offset:         72
        .size:           8
        .value_kind:     global_buffer
      - .address_space:  global
        .offset:         80
        .size:           8
        .value_kind:     global_buffer
    .group_segment_fixed_size: 0
    .kernarg_segment_align: 8
    .kernarg_segment_size: 88
    .language:       OpenCL C
    .language_version:
      - 2
      - 0
    .max_flat_workgroup_size: 52
    .name:           fft_rtc_fwd_len1248_factors_2_2_13_2_3_2_2_wgs_52_tpt_52_halfLds_half_ip_CI_unitstride_sbrr_dirReg
    .private_segment_fixed_size: 0
    .sgpr_count:     23
    .sgpr_spill_count: 0
    .symbol:         fft_rtc_fwd_len1248_factors_2_2_13_2_3_2_2_wgs_52_tpt_52_halfLds_half_ip_CI_unitstride_sbrr_dirReg.kd
    .uniform_work_group_size: 1
    .uses_dynamic_stack: false
    .vgpr_count:     146
    .vgpr_spill_count: 0
    .wavefront_size: 32
    .workgroup_processor_mode: 1
amdhsa.target:   amdgcn-amd-amdhsa--gfx1030
amdhsa.version:
  - 1
  - 2
...

	.end_amdgpu_metadata
